;; amdgpu-corpus repo=ROCm/aiter kind=harvested arch=n/a opt=n/a

/root/src/amdgpu-assembly/repos/ROCm__aiter/hsa/gfx942/fmoe/silu/fmoe_bf16_pertokenFp8_g1u1_smf_silu_1tg_32x320.co:	file format elf64-amdgpu

Disassembly of section .text:

0000000000002e00 <_ZN5aiter46fmoe_bf16_pertokenFp8_g1u1_smf_silu_1tg_32x320E>:
	s_and_b32 s1, s1, 0xffff                                   // 000000002E00: 8601FF01 0000FFFF
	s_load_dwordx2 s[8:9], s[0:1], 0x0                         // 000000002E08: C0060200 00000000
	s_load_dwordx2 s[20:21], s[0:1], 0x10                      // 000000002E10: C0060500 00000010
	s_load_dwordx2 s[24:25], s[0:1], 0x20                      // 000000002E18: C0060600 00000020
	s_load_dwordx2 s[50:51], s[0:1], 0x30                      // 000000002E20: C0060C80 00000030
	s_load_dwordx2 s[12:13], s[0:1], 0x40                      // 000000002E28: C0060300 00000040
	s_load_dwordx2 s[28:29], s[0:1], 0x50                      // 000000002E30: C0060700 00000050
	s_load_dwordx2 s[32:33], s[0:1], 0x60                      // 000000002E38: C0060800 00000060
	s_load_dwordx2 s[16:17], s[0:1], 0x70                      // 000000002E40: C0060400 00000070
	s_load_dwordx2 s[36:37], s[0:1], 0x80                      // 000000002E48: C0060900 00000080
	s_load_dwordx2 s[44:45], s[0:1], 0x90                      // 000000002E50: C0060B00 00000090
	s_load_dwordx2 s[40:41], s[0:1], 0xa0                      // 000000002E58: C0060A00 000000A0
	s_load_dwordx2 s[46:47], s[0:1], 0xb0                      // 000000002E60: C0060B80 000000B0
	s_load_dword s64, s[0:1], 0xc0                             // 000000002E68: C0021000 000000C0
	s_load_dword s65, s[0:1], 0xd0                             // 000000002E70: C0021040 000000D0
	s_load_dword s66, s[0:1], 0xe0                             // 000000002E78: C0021080 000000E0
	s_load_dword s67, s[0:1], 0xf0                             // 000000002E80: C00210C0 000000F0
	s_load_dword s68, s[0:1], 0x100                            // 000000002E88: C0021100 00000100
	s_load_dword s69, s[0:1], 0x110                            // 000000002E90: C0021140 00000110
	s_load_dword s70, s[0:1], 0x120                            // 000000002E98: C0021180 00000120
	s_load_dword s71, s[0:1], 0x130                            // 000000002EA0: C00211C0 00000130
	s_load_dword s72, s[0:1], 0x140                            // 000000002EA8: C0021200 00000140
	s_load_dword s73, s[0:1], 0x150                            // 000000002EB0: C0021240 00000150
	s_load_dword s74, s[0:1], 0x160                            // 000000002EB8: C0021280 00000160
	s_load_dword s75, s[0:1], 0x170                            // 000000002EC0: C00212C0 00000170
	s_load_dword s76, s[0:1], 0x180                            // 000000002EC8: C0021300 00000180
	s_load_dword s63, s[0:1], 0x190                            // 000000002ED0: C0020FC0 00000190
	v_lshrrev_b32_e32 v1, 10, v0                               // 000000002ED8: 2002008A
	v_lshrrev_b32_e32 v2, 10, v1                               // 000000002EDC: 2004028A
	v_and_b32_e32 v2, 0x3ff, v2                                // 000000002EE0: 260404FF 000003FF
	v_and_b32_e32 v1, 0x3ff, v1                                // 000000002EE8: 260202FF 000003FF
	v_and_b32_e32 v0, 0x3ff, v0                                // 000000002EF0: 260000FF 000003FF
	v_lshrrev_b32_e32 v3, 6, v0                                // 000000002EF8: 20060086
	v_and_b32_e32 v0, 63, v0                                   // 000000002EFC: 260000BF
	s_mov_b32 s60, s2                                          // 000000002F00: BEBC0002
	s_mov_b32 s2, s3                                           // 000000002F04: BE820003
	s_mov_b32 s3, s60                                          // 000000002F08: BE83003C
	v_readfirstlane_b32 s5, v3                                 // 000000002F0C: 7E0A0503
	s_waitcnt lgkmcnt(0)                                       // 000000002F10: BF8CC07F
	s_and_b32 s51, s51, 0xffff                                 // 000000002F14: 8633FF33 0000FFFF
	s_load_dword s50, s[50:51], 0x0                            // 000000002F1C: C0020C99 00000000
	s_and_b32 s45, s45, 0xffff                                 // 000000002F24: 862DFF2D 0000FFFF
	s_and_b32 s47, s47, 0xffff                                 // 000000002F2C: 862FFF2F 0000FFFF
	s_and_b32 s9, s9, 0xffff                                   // 000000002F34: 8609FF09 0000FFFF
	s_mul_i32 s60, s66, s68                                    // 000000002F3C: 923C4442
	s_mov_b32 s22, s60                                         // 000000002F40: BE96003C
	s_mov_b32 s26, -16                                         // 000000002F44: BE9A00D0
	s_mov_b32 s14, -16                                         // 000000002F48: BE8E00D0
	s_mov_b32 s42, -16                                         // 000000002F4C: BEAA00D0
	s_mov_b32 s30, -16                                         // 000000002F50: BE9E00D0
	s_mov_b32 s34, 0x500                                       // 000000002F54: BEA200FF 00000500
	s_mov_b32 s38, 0x500                                       // 000000002F5C: BEA600FF 00000500
	s_mov_b32 s18, -16                                         // 000000002F64: BE9200D0
	s_mov_b32 s23, 0x20000                                     // 000000002F68: BE9700FF 00020000
	s_mov_b32 s27, 0x20000                                     // 000000002F70: BE9B00FF 00020000
	s_mov_b32 s15, 0x20000                                     // 000000002F78: BE8F00FF 00020000
	s_mov_b32 s43, 0x20000                                     // 000000002F80: BEAB00FF 00020000
	s_mov_b32 s31, 0x20000                                     // 000000002F88: BE9F00FF 00020000
	s_mov_b32 s35, 0x20000                                     // 000000002F90: BEA300FF 00020000
	s_mov_b32 s39, 0x20000                                     // 000000002F98: BEA700FF 00020000
	s_mov_b32 s19, 0x20000                                     // 000000002FA0: BE9300FF 00020000
	s_and_b32 s21, s21, 0xffff                                 // 000000002FA8: 8615FF15 0000FFFF
	s_and_b32 s25, s25, 0xffff                                 // 000000002FB0: 8619FF19 0000FFFF
	s_and_b32 s13, s13, 0xffff                                 // 000000002FB8: 860DFF0D 0000FFFF
	s_and_b32 s41, s41, 0xffff                                 // 000000002FC0: 8629FF29 0000FFFF
	s_and_b32 s29, s29, 0xffff                                 // 000000002FC8: 861DFF1D 0000FFFF
	s_and_b32 s33, s33, 0xffff                                 // 000000002FD0: 8621FF21 0000FFFF
	s_and_b32 s37, s37, 0xffff                                 // 000000002FD8: 8625FF25 0000FFFF
	s_and_b32 s17, s17, 0xffff                                 // 000000002FE0: 8611FF11 0000FFFF
	s_or_b32 s21, s21, 0x40000                                 // 000000002FE8: 8715FF15 00040000
	s_or_b32 s25, s25, 0x40000                                 // 000000002FF0: 8719FF19 00040000
	s_or_b32 s13, s13, 0x40000                                 // 000000002FF8: 870DFF0D 00040000
	s_or_b32 s41, s41, 0x40000                                 // 000000003000: 8729FF29 00040000
	s_or_b32 s29, s29, 0x40000                                 // 000000003008: 871DFF1D 00040000
	s_or_b32 s33, s33, 0x40000                                 // 000000003010: 8721FF21 00040000
	s_or_b32 s37, s37, 0x40000                                 // 000000003018: 8725FF25 00040000
	s_or_b32 s17, s17, 0x40000                                 // 000000003020: 8711FF11 00040000
	v_accvgpr_write_b32 a159, 0                                // 000000003028: D3D9409F 18000080
	v_mov_b32_e32 v231, 0                                      // 000000003030: 7FCE0280
	s_waitcnt lgkmcnt(0)                                       // 000000003034: BF8CC07F
	s_mul_i32 s60, s3, 32                                      // 000000003038: 923CA003
	s_cmp_lt_i32 s60, s50                                      // 00000000303C: BF04323C
	s_cbranch_scc0 label_2692                                  // 000000003040: BF842601
	s_mov_b32 s80, 0                                           // 000000003044: BED00080
	s_mov_b32 s81, s64                                         // 000000003048: BED10040
	s_mul_i32 s60, s3, 4                                       // 00000000304C: 923C8403
	s_add_u32 s46, s60, s46                                    // 000000003050: 802E2E3C
	s_addc_u32 s47, 0, s47                                     // 000000003054: 822F2F80
	s_load_dword s77, s[46:47], 0x0                            // 000000003058: C0021357 00000000
	s_mul_i32 s60, s3, 32                                      // 000000003060: 923CA003
	s_add_u32 s60, s5, s60                                     // 000000003064: 803C3C05
	s_mul_i32 s60, 4, s60                                      // 000000003068: 923C3C84
	s_add_u32 s44, s60, s44                                    // 00000000306C: 802C2C3C
	s_addc_u32 s45, 0, s45                                     // 000000003070: 822D2D80
	s_load_dword s82, s[44:45], 0x0                            // 000000003074: C0021496 00000000
	s_load_dword s83, s[44:45], 0x10                           // 00000000307C: C00214D6 00000010
	s_load_dword s84, s[44:45], 0x20                           // 000000003084: C0021516 00000020
	s_load_dword s85, s[44:45], 0x30                           // 00000000308C: C0021556 00000030
	s_load_dword s86, s[44:45], 0x40                           // 000000003094: C0021596 00000040
	s_load_dword s87, s[44:45], 0x50                           // 00000000309C: C00215D6 00000050
	s_load_dword s88, s[44:45], 0x60                           // 0000000030A4: C0021616 00000060
	s_load_dword s89, s[44:45], 0x70                           // 0000000030AC: C0021656 00000070
	s_waitcnt lgkmcnt(0)                                       // 0000000030B4: BF8CC07F
	v_lshlrev_b32_e32 v42, 2, v0                               // 0000000030B8: 24540082
	s_and_b32 s82, s82, 0xffffff                               // 0000000030BC: 8652FF52 00FFFFFF
	s_mul_i32 s60, s82, s68                                    // 0000000030C4: 923C4452
	v_add_u32_e64 v28, v42, s60                                // 0000000030C8: D134001C 0000792A
	s_and_b32 s83, s83, 0xffffff                               // 0000000030D0: 8653FF53 00FFFFFF
	s_mul_i32 s60, s83, s68                                    // 0000000030D8: 923C4453
	v_add_u32_e64 v29, v42, s60                                // 0000000030DC: D134001D 0000792A
	s_and_b32 s84, s84, 0xffffff                               // 0000000030E4: 8654FF54 00FFFFFF
	s_mul_i32 s60, s84, s68                                    // 0000000030EC: 923C4454
	v_add_u32_e64 v30, v42, s60                                // 0000000030F0: D134001E 0000792A
	s_and_b32 s85, s85, 0xffffff                               // 0000000030F8: 8655FF55 00FFFFFF
	s_mul_i32 s60, s85, s68                                    // 000000003100: 923C4455
	v_add_u32_e64 v31, v42, s60                                // 000000003104: D134001F 0000792A
	s_and_b32 s86, s86, 0xffffff                               // 00000000310C: 8656FF56 00FFFFFF
	s_mul_i32 s60, s86, s68                                    // 000000003114: 923C4456
	v_add_u32_e64 v32, v42, s60                                // 000000003118: D1340020 0000792A
	s_and_b32 s87, s87, 0xffffff                               // 000000003120: 8657FF57 00FFFFFF
	s_mul_i32 s60, s87, s68                                    // 000000003128: 923C4457
	v_add_u32_e64 v33, v42, s60                                // 00000000312C: D1340021 0000792A
	s_and_b32 s88, s88, 0xffffff                               // 000000003134: 8658FF58 00FFFFFF
	s_mul_i32 s60, s88, s68                                    // 00000000313C: 923C4458
	v_add_u32_e64 v34, v42, s60                                // 000000003140: D1340022 0000792A
	s_and_b32 s89, s89, 0xffffff                               // 000000003148: 8659FF59 00FFFFFF
	s_mul_i32 s60, s89, s68                                    // 000000003150: 923C4459
	v_add_u32_e64 v35, v42, s60                                // 000000003154: D1340023 0000792A
	v_lshlrev_b32_e32 v42, 2, v0                               // 00000000315C: 24540082
	s_mul_i32 s60, s82, s71                                    // 000000003160: 923C4752
	v_add_u32_e64 v80, v42, s60                                // 000000003164: D1340050 0000792A
	v_mov_b32_e32 v81, 0                                       // 00000000316C: 7EA20280
	s_mul_i32 s60, s83, s71                                    // 000000003170: 923C4753
	v_add_u32_e64 v82, v42, s60                                // 000000003174: D1340052 0000792A
	v_mov_b32_e32 v83, 0                                       // 00000000317C: 7EA60280
	s_mul_i32 s60, s84, s71                                    // 000000003180: 923C4754
	v_add_u32_e64 v84, v42, s60                                // 000000003184: D1340054 0000792A
	v_mov_b32_e32 v85, 0                                       // 00000000318C: 7EAA0280
	s_mul_i32 s60, s85, s71                                    // 000000003190: 923C4755
	v_add_u32_e64 v86, v42, s60                                // 000000003194: D1340056 0000792A
	v_mov_b32_e32 v87, 0                                       // 00000000319C: 7EAE0280
	s_mul_i32 s60, s86, s71                                    // 0000000031A0: 923C4756
	v_add_u32_e64 v88, v42, s60                                // 0000000031A4: D1340058 0000792A
	v_mov_b32_e32 v89, 0                                       // 0000000031AC: 7EB20280
	s_mul_i32 s60, s87, s71                                    // 0000000031B0: 923C4757
	v_add_u32_e64 v90, v42, s60                                // 0000000031B4: D134005A 0000792A
	v_mov_b32_e32 v91, 0                                       // 0000000031BC: 7EB60280
	s_mul_i32 s60, s88, s71                                    // 0000000031C0: 923C4758
	v_add_u32_e64 v92, v42, s60                                // 0000000031C4: D134005C 0000792A
	v_mov_b32_e32 v93, 0                                       // 0000000031CC: 7EBA0280
	s_mul_i32 s60, s89, s71                                    // 0000000031D0: 923C4759
	v_add_u32_e64 v94, v42, s60                                // 0000000031D4: D134005E 0000792A
	v_mov_b32_e32 v95, 0                                       // 0000000031DC: 7EBE0280
	s_mul_i32 s60, s5, 0x208                                   // 0000000031E0: 923CFF05 00000208
	s_add_u32 s50, 0x800, s60                                  // 0000000031E8: 80323CFF 00000800
	s_add_u32 s51, 0x4100, s50                                 // 0000000031F0: 803332FF 00004100
	v_lshrrev_b32_e32 v42, 4, v0                               // 0000000031F8: 20540084
	v_lshlrev_b32_e32 v43, 1, v42                              // 0000000031FC: 24565481
	v_and_b32_e32 v42, 15, v0                                  // 000000003200: 2654008F
	v_mul_i32_i24_e32 v42, 0x82, v42                           // 000000003204: 0C5454FF 00000082
	v_add_u32_e32 v43, v42, v43                                // 00000000320C: 6856572A
	v_lshlrev_b32_e32 v2, 2, v43                               // 000000003210: 24045682
	s_mul_i32 s60, s5, 32                                      // 000000003214: 923CA005
	v_add_u32_e32 v2, s60, v2                                  // 000000003218: 6804043C
	v_lshlrev_b32_e32 v42, 3, v0                               // 00000000321C: 24540083
	s_mul_i32 s60, 0x200, s5                                   // 000000003220: 923C05FF 00000200
	v_add_u32_e32 v3, s60, v42                                 // 000000003228: 6806543C
	v_and_b32_e32 v42, 15, v0                                  // 00000000322C: 2654008F
	v_lshlrev_b32_e32 v4, 3, v42                               // 000000003230: 24085483
	v_lshrrev_b32_e32 v42, 5, v0                               // 000000003234: 20540085
	v_lshlrev_b32_e32 v43, 5, v42                              // 000000003238: 24565485
	v_and_b32_e32 v42, 31, v0                                  // 00000000323C: 2654009F
	v_lshrrev_b32_e32 v44, 4, v42                              // 000000003240: 20585484
	v_add_u32_e32 v43, v44, v43                                // 000000003244: 6856572C
	v_and_b32_e32 v42, 15, v0                                  // 000000003248: 2654008F
	v_lshlrev_b32_e32 v42, 1, v42                              // 00000000324C: 24545481
	v_add_u32_e32 v43, v42, v43                                // 000000003250: 6856572A
	v_lshlrev_b32_e32 v42, 2, v43                              // 000000003254: 24545682
	s_mul_i32 s60, 0x100, s5                                   // 000000003258: 923C05FF 00000100
	v_add_u32_e64 v12, v42, s60                                // 000000003260: D134000C 0000792A
	v_lshrrev_b32_e32 v42, 4, v0                               // 000000003268: 20540084
	v_lshlrev_b32_e32 v43, 6, v42                              // 00000000326C: 24565486
	v_and_b32_e32 v42, 15, v0                                  // 000000003270: 2654008F
	v_lshlrev_b32_e32 v42, 1, v42                              // 000000003274: 24545481
	v_add_u32_e32 v43, v42, v43                                // 000000003278: 6856572A
	v_lshlrev_b32_e32 v13, 2, v43                              // 00000000327C: 241A5682
	s_mul_i32 s60, s2, 0x140                                   // 000000003280: 923CFF02 00000140
	s_mul_i32 s60, s60, s69                                    // 000000003288: 923C453C
	s_mul_i32 s61, s77, s72                                    // 00000000328C: 923D484D
	s_add_u32 s60, s61, s60                                    // 000000003290: 803C3C3D
	s_add_u32 s24, s60, s24                                    // 000000003294: 8018183C
	s_addc_u32 s25, 0, s25                                     // 000000003298: 82191980
	s_mul_i32 s60, s5, 16                                      // 00000000329C: 923C9005
	s_mul_i32 s60, s60, s69                                    // 0000000032A0: 923C453C
	v_lshlrev_b32_e32 v36, 4, v0                               // 0000000032A4: 24480084
	v_add_u32_e32 v36, s60, v36                                // 0000000032A8: 6848483C
	s_mul_i32 s60, 64, s69                                     // 0000000032AC: 923C45C0
	v_add_u32_e32 v37, s60, v36                                // 0000000032B0: 684A483C
	v_add_u32_e32 v38, s60, v37                                // 0000000032B4: 684C4A3C
	v_add_u32_e32 v39, s60, v38                                // 0000000032B8: 684E4C3C
	v_add_u32_e32 v40, s60, v39                                // 0000000032BC: 68504E3C
	s_mov_b32 s92, s24                                         // 0000000032C0: BEDC0018
	s_mov_b32 s93, s25                                         // 0000000032C4: BEDD0019
	s_mov_b32 s94, s26                                         // 0000000032C8: BEDE001A
	s_mov_b32 s95, s27                                         // 0000000032CC: BEDF001B
	s_mul_i32 s60, s69, s65                                    // 0000000032D0: 923C4145
	s_add_u32 s92, s60, s92                                    // 0000000032D4: 805C5C3C
	s_addc_u32 s93, 0, s93                                     // 0000000032D8: 825D5D80
	s_mul_i32 s60, s2, 0x1400                                  // 0000000032DC: 923CFF02 00001400
	s_mul_i32 s61, s77, s73                                    // 0000000032E4: 923D494D
	s_add_u32 s60, s61, s60                                    // 0000000032E8: 803C3C3D
	s_add_u32 s12, s60, s12                                    // 0000000032EC: 800C0C3C
	s_addc_u32 s13, 0, s13                                     // 0000000032F0: 820D0D80
	s_mul_i32 s60, s70, 0x100                                  // 0000000032F4: 923CFF46 00000100
	s_mov_b32 s78, 0x400                                       // 0000000032FC: BECE00FF 00000400
	s_mul_i32 s61, s78, 4                                      // 000000003304: 923D844E
	s_sub_u32 s56, s60, s61                                    // 000000003308: 80B83D3C
	s_mul_i32 s60, s3, 32                                      // 00000000330C: 923CA003
	s_mul_i32 s60, 4, s60                                      // 000000003310: 923C3C84
	s_add_u32 s40, s60, s40                                    // 000000003314: 8028283C
	s_addc_u32 s41, 0, s41                                     // 000000003318: 82292980
	v_and_b32_e32 v42, 15, v0                                  // 00000000331C: 2654008F
	v_lshlrev_b32_e32 v8, 2, v42                               // 000000003320: 24105482
	v_add_u32_e32 v9, 64, v8                                   // 000000003324: 681210C0
	v_lshrrev_b32_e32 v42, 4, v0                               // 000000003328: 20540084
	v_lshlrev_b32_e32 v43, 2, v42                              // 00000000332C: 24565482
	v_and_b32_e32 v42, 15, v0                                  // 000000003330: 2654008F
	v_lshrrev_b32_e32 v44, 2, v42                              // 000000003334: 20585482
	v_lshlrev_b32_e32 v44, 6, v44                              // 000000003338: 24585886
	v_add_u32_e32 v43, v44, v43                                // 00000000333C: 6856572C
	v_and_b32_e32 v42, 3, v0                                   // 000000003340: 26540083
	v_add_u32_e32 v43, v42, v43                                // 000000003344: 6856572A
	v_lshlrev_b32_e32 v10, 2, v43                              // 000000003348: 24145682
	v_add_u32_e32 v11, 0x400, v10                              // 00000000334C: 681614FF 00000400
	s_mul_i32 s60, s5, 16                                      // 000000003354: 923C9005
	s_mul_i32 s60, s60, 4                                      // 000000003358: 923C843C
	v_add_u32_e32 v10, s60, v10                                // 00000000335C: 6814143C
	v_add_u32_e32 v11, s60, v11                                // 000000003360: 6816163C
	v_mov_b32_e32 v5, v10                                      // 000000003364: 7E0A030A
	v_mov_b32_e32 v6, v10                                      // 000000003368: 7E0C030A
	s_mul_i32 s60, s2, 0x140                                   // 00000000336C: 923CFF02 00000140
	s_mul_i32 s60, s60, 4                                      // 000000003374: 923C843C
	s_mul_i32 s61, s77, s74                                    // 000000003378: 923D4A4D
	s_add_u32 s61, s61, s60                                    // 00000000337C: 803D3C3D
	s_mul_i32 s62, s77, s76                                    // 000000003380: 923E4C4D
	s_add_u32 s62, s62, s60                                    // 000000003384: 803E3C3E
	s_add_u32 s32, s61, s32                                    // 000000003388: 8020203D
	s_addc_u32 s33, 0, s33                                     // 00000000338C: 82212180
	s_add_u32 s36, s62, s36                                    // 000000003390: 8024243E
	s_addc_u32 s37, 0, s37                                     // 000000003394: 82252580
	s_mul_i32 s60, s77, s75                                    // 000000003398: 923C4B4D
	s_add_u32 s16, s60, s16                                    // 00000000339C: 8010103C
	s_addc_u32 s17, 0, s17                                     // 0000000033A0: 82111180
	s_add_u32 s28, s60, s28                                    // 0000000033A4: 801C1C3C
	s_addc_u32 s29, 0, s29                                     // 0000000033A8: 821D1D80
	s_mov_b32 s57, 0x200                                       // 0000000033AC: BEB900FF 00000200
	s_mov_b32 s58, 0x1000                                      // 0000000033B4: BEBA00FF 00001000
	s_mov_b32 s79, 0x400                                       // 0000000033BC: BECF00FF 00000400
	s_mov_b32 s91, 0x400                                       // 0000000033C4: BEDB00FF 00000400
	s_mov_b32 s59, 0x200                                       // 0000000033CC: BEBB00FF 00000200
	s_mov_b32 s90, s58                                         // 0000000033D4: BEDA003A
	s_mov_b32 s52, 0x7060302                                   // 0000000033D8: BEB400FF 07060302
	s_mov_b32 s53, 0x400                                       // 0000000033E0: BEB500FF 00000400
	s_mov_b32 s54, 0x40100                                     // 0000000033E8: BEB600FF 00040100
	s_mov_b32 s55, 0x4020100                                   // 0000000033F0: BEB700FF 04020100
	s_mov_b32 s6, 0x3fb8aa3b                                   // 0000000033F8: BE8600FF 3FB8AA3B
	s_mov_b32 s7, 0x3fb8aa3b                                   // 000000003400: BE8700FF 3FB8AA3B
	s_mov_b32 s3, 0xbd92220c                                   // 000000003408: BE8300FF BD92220C
	s_mov_b32 s4, 0xbd92220c                                   // 000000003410: BE8400FF BD92220C
	s_mov_b32 m0, s50                                          // 000000003418: BEFC0032
	v_mov_b32_e32 v54, 0xbfcc4231                              // 00000000341C: 7E6C02FF BFCC4231
	v_mov_b32_e32 v55, 0xbfcc4231                              // 000000003424: 7E6E02FF BFCC4231
	v_mov_b32_e32 v51, 0xffff0000                              // 00000000342C: 7E6602FF FFFF0000
	v_mov_b32_e32 v52, 0x7fff0000                              // 000000003434: 7E6802FF 7FFF0000
	v_mov_b32_e32 v53, 0x7fff                                  // 00000000343C: 7E6A02FF 00007FFF
	buffer_load_dword v20, v8, s[40:43], 0 offen               // 000000003444: E0501000 800A1408
	buffer_load_dword v21, v9, s[40:43], 0 offen               // 00000000344C: E0501000 800A1509
	buffer_load_dword v16, v10, s[32:35], 0 offen              // 000000003454: E0501000 8008100A
	buffer_load_dword v17, v11, s[32:35], 0 offen              // 00000000345C: E0501000 8008110B
	s_mul_i32 s60, 4, s65                                      // 000000003464: 923C4184
	s_add_u32 s32, s60, s32                                    // 000000003468: 8020203C
	s_addc_u32 s33, 0, s33                                     // 00000000346C: 82212180
	buffer_load_dword v8, v10, s[32:35], 0 offen               // 000000003470: E0501000 8008080A
	buffer_load_dword v9, v11, s[32:35], 0 offen               // 000000003478: E0501000 8008090B
	buffer_load_dword v18, v10, s[36:39], 0 offen              // 000000003480: E0501000 8009120A
	buffer_load_dword v19, v11, s[36:39], 0 offen              // 000000003488: E0501000 8009130B
	buffer_load_dword v14, v6, s[28:31], 0 offen               // 000000003490: E0501000 80070E06
	s_add_u32 s28, s91, s28                                    // 000000003498: 801C1C5B
	s_addc_u32 s29, 0, s29                                     // 00000000349C: 821D1D80
	buffer_load_dword v28, s[20:23], 0 offen lds               // 0000000034A0: E0511000 8005001C
	buffer_load_dword v28, s[20:23], 0 offen offset:256 lds    // 0000000034A8: E0511100 8005001C
	s_add_u32 m0, 0x820, s50                                   // 0000000034B0: 807C32FF 00000820
	buffer_load_dword v29, s[20:23], 0 offen lds               // 0000000034B8: E0511000 8005001D
	buffer_load_dword v29, s[20:23], 0 offen offset:256 lds    // 0000000034C0: E0511100 8005001D
	s_add_u32 m0, 0x1040, s50                                  // 0000000034C8: 807C32FF 00001040
	buffer_load_dword v30, s[20:23], 0 offen lds               // 0000000034D0: E0511000 8005001E
	buffer_load_dword v30, s[20:23], 0 offen offset:256 lds    // 0000000034D8: E0511100 8005001E
	s_add_u32 m0, 0x1860, s50                                  // 0000000034E0: 807C32FF 00001860
	buffer_load_dword v31, s[20:23], 0 offen lds               // 0000000034E8: E0511000 8005001F
	buffer_load_dword v31, s[20:23], 0 offen offset:256 lds    // 0000000034F0: E0511100 8005001F
	s_add_u32 m0, 0x2080, s50                                  // 0000000034F8: 807C32FF 00002080
	buffer_load_dword v32, s[20:23], 0 offen lds               // 000000003500: E0511000 80050020
	buffer_load_dword v32, s[20:23], 0 offen offset:256 lds    // 000000003508: E0511100 80050020
	s_add_u32 m0, 0x28a0, s50                                  // 000000003510: 807C32FF 000028A0
	buffer_load_dword v33, s[20:23], 0 offen lds               // 000000003518: E0511000 80050021
	buffer_load_dword v33, s[20:23], 0 offen offset:256 lds    // 000000003520: E0511100 80050021
	s_add_u32 m0, 0x30c0, s50                                  // 000000003528: 807C32FF 000030C0
	buffer_load_dword v34, s[20:23], 0 offen lds               // 000000003530: E0511000 80050022
	buffer_load_dword v34, s[20:23], 0 offen offset:256 lds    // 000000003538: E0511100 80050022
	s_add_u32 m0, 0x38e0, s50                                  // 000000003540: 807C32FF 000038E0
	buffer_load_dword v35, s[20:23], 0 offen lds               // 000000003548: E0511000 80050023
	buffer_load_dword v35, s[20:23], 0 offen offset:256 lds    // 000000003550: E0511100 80050023
	s_add_u32 m0, 0, s51                                       // 000000003558: 807C3380
	s_add_u32 s20, s57, s20                                    // 00000000355C: 80141439
	s_addc_u32 s21, 0, s21                                     // 000000003560: 82151580
	buffer_load_dwordx4 a[0:3], v36, s[24:27], 0 offen         // 000000003564: E05C1000 80860024
	buffer_load_dwordx4 a[4:7], v36, s[24:27], 0 offen offset:1024// 00000000356C: E05C1400 80860424
	buffer_load_dwordx4 a[8:11], v36, s[24:27], 0 offen offset:2048// 000000003574: E05C1800 80860824
	buffer_load_dwordx4 a[12:15], v36, s[24:27], 0 offen offset:3072// 00000000357C: E05C1C00 80860C24
	buffer_load_dwordx4 a[16:19], v37, s[24:27], 0 offen       // 000000003584: E05C1000 80861025
	buffer_load_dwordx4 a[20:23], v37, s[24:27], 0 offen offset:1024// 00000000358C: E05C1400 80861425
	buffer_load_dwordx4 a[24:27], v37, s[24:27], 0 offen offset:2048// 000000003594: E05C1800 80861825
	buffer_load_dwordx4 a[28:31], v37, s[24:27], 0 offen offset:3072// 00000000359C: E05C1C00 80861C25
	buffer_load_dwordx4 a[32:35], v38, s[24:27], 0 offen       // 0000000035A4: E05C1000 80862026
	buffer_load_dwordx4 a[36:39], v38, s[24:27], 0 offen offset:1024// 0000000035AC: E05C1400 80862426
	buffer_load_dwordx4 a[40:43], v38, s[24:27], 0 offen offset:2048// 0000000035B4: E05C1800 80862826
	buffer_load_dwordx4 a[44:47], v38, s[24:27], 0 offen offset:3072// 0000000035BC: E05C1C00 80862C26
	buffer_load_dwordx4 a[48:51], v39, s[24:27], 0 offen       // 0000000035C4: E05C1000 80863027
	buffer_load_dwordx4 a[52:55], v39, s[24:27], 0 offen offset:1024// 0000000035CC: E05C1400 80863427
	buffer_load_dwordx4 a[56:59], v39, s[24:27], 0 offen offset:2048// 0000000035D4: E05C1800 80863827
	buffer_load_dwordx4 a[60:63], v39, s[24:27], 0 offen offset:3072// 0000000035DC: E05C1C00 80863C27
	buffer_load_dwordx4 a[64:67], v40, s[24:27], 0 offen       // 0000000035E4: E05C1000 80864028
	buffer_load_dwordx4 a[68:71], v40, s[24:27], 0 offen offset:1024// 0000000035EC: E05C1400 80864428
	buffer_load_dwordx4 a[72:75], v40, s[24:27], 0 offen offset:2048// 0000000035F4: E05C1800 80864828
	buffer_load_dwordx4 a[76:79], v40, s[24:27], 0 offen offset:3072// 0000000035FC: E05C1C00 80864C28
	s_add_u32 s24, s58, s24                                    // 000000003604: 8018183A
	s_addc_u32 s25, 0, s25                                     // 000000003608: 82191980
	v_mov_b32_e32 v128, 0                                      // 00000000360C: 7F000280
	v_mov_b32_e32 v64, 0                                       // 000000003610: 7E800280
	v_mov_b32_e32 v129, 0                                      // 000000003614: 7F020280
	v_mov_b32_e32 v65, 0                                       // 000000003618: 7E820280
	v_mov_b32_e32 v130, 0                                      // 00000000361C: 7F040280
	v_mov_b32_e32 v66, 0                                       // 000000003620: 7E840280
	v_mov_b32_e32 v131, 0                                      // 000000003624: 7F060280
	v_mov_b32_e32 v67, 0                                       // 000000003628: 7E860280
	v_mov_b32_e32 v132, 0                                      // 00000000362C: 7F080280
	v_mov_b32_e32 v68, 0                                       // 000000003630: 7E880280
	v_mov_b32_e32 v133, 0                                      // 000000003634: 7F0A0280
	v_mov_b32_e32 v69, 0                                       // 000000003638: 7E8A0280
	v_mov_b32_e32 v134, 0                                      // 00000000363C: 7F0C0280
	v_mov_b32_e32 v70, 0                                       // 000000003640: 7E8C0280
	v_mov_b32_e32 v135, 0                                      // 000000003644: 7F0E0280
	v_mov_b32_e32 v71, 0                                       // 000000003648: 7E8E0280
	v_mov_b32_e32 v136, 0                                      // 00000000364C: 7F100280
	v_mov_b32_e32 v72, 0                                       // 000000003650: 7E900280
	v_mov_b32_e32 v137, 0                                      // 000000003654: 7F120280
	v_mov_b32_e32 v73, 0                                       // 000000003658: 7E920280
	v_mov_b32_e32 v138, 0                                      // 00000000365C: 7F140280
	v_mov_b32_e32 v74, 0                                       // 000000003660: 7E940280
	v_mov_b32_e32 v139, 0                                      // 000000003664: 7F160280
	v_mov_b32_e32 v75, 0                                       // 000000003668: 7E960280
	v_mov_b32_e32 v140, 0                                      // 00000000366C: 7F180280
	v_mov_b32_e32 v76, 0                                       // 000000003670: 7E980280
	v_mov_b32_e32 v141, 0                                      // 000000003674: 7F1A0280
	v_mov_b32_e32 v77, 0                                       // 000000003678: 7E9A0280
	v_mov_b32_e32 v142, 0                                      // 00000000367C: 7F1C0280
	v_mov_b32_e32 v78, 0                                       // 000000003680: 7E9C0280
	v_mov_b32_e32 v143, 0                                      // 000000003684: 7F1E0280
	v_mov_b32_e32 v79, 0                                       // 000000003688: 7E9E0280
	v_mov_b32_e32 v144, 0                                      // 00000000368C: 7F200280
	v_mov_b32_e32 v80, 0                                       // 000000003690: 7EA00280
	v_mov_b32_e32 v145, 0                                      // 000000003694: 7F220280
	v_mov_b32_e32 v81, 0                                       // 000000003698: 7EA20280
	v_mov_b32_e32 v146, 0                                      // 00000000369C: 7F240280
	v_mov_b32_e32 v82, 0                                       // 0000000036A0: 7EA40280
	v_mov_b32_e32 v147, 0                                      // 0000000036A4: 7F260280
	v_mov_b32_e32 v83, 0                                       // 0000000036A8: 7EA60280
	v_mov_b32_e32 v148, 0                                      // 0000000036AC: 7F280280
	v_mov_b32_e32 v84, 0                                       // 0000000036B0: 7EA80280
	v_mov_b32_e32 v149, 0                                      // 0000000036B4: 7F2A0280
	v_mov_b32_e32 v85, 0                                       // 0000000036B8: 7EAA0280
	v_mov_b32_e32 v150, 0                                      // 0000000036BC: 7F2C0280
	v_mov_b32_e32 v86, 0                                       // 0000000036C0: 7EAC0280
	v_mov_b32_e32 v151, 0                                      // 0000000036C4: 7F2E0280
	v_mov_b32_e32 v87, 0                                       // 0000000036C8: 7EAE0280
	v_mov_b32_e32 v152, 0                                      // 0000000036CC: 7F300280
	v_mov_b32_e32 v88, 0                                       // 0000000036D0: 7EB00280
	v_mov_b32_e32 v153, 0                                      // 0000000036D4: 7F320280
	v_mov_b32_e32 v89, 0                                       // 0000000036D8: 7EB20280
	v_mov_b32_e32 v154, 0                                      // 0000000036DC: 7F340280
	v_mov_b32_e32 v90, 0                                       // 0000000036E0: 7EB40280
	v_mov_b32_e32 v155, 0                                      // 0000000036E4: 7F360280
	v_mov_b32_e32 v91, 0                                       // 0000000036E8: 7EB60280
	v_mov_b32_e32 v156, 0                                      // 0000000036EC: 7F380280
	v_mov_b32_e32 v92, 0                                       // 0000000036F0: 7EB80280
	v_mov_b32_e32 v157, 0                                      // 0000000036F4: 7F3A0280
	v_mov_b32_e32 v93, 0                                       // 0000000036F8: 7EBA0280
	v_mov_b32_e32 v158, 0                                      // 0000000036FC: 7F3C0280
	v_mov_b32_e32 v94, 0                                       // 000000003700: 7EBC0280
	v_mov_b32_e32 v159, 0                                      // 000000003704: 7F3E0280
	v_mov_b32_e32 v95, 0                                       // 000000003708: 7EBE0280
	v_mov_b32_e32 v160, 0                                      // 00000000370C: 7F400280
	v_mov_b32_e32 v96, 0                                       // 000000003710: 7EC00280
	v_mov_b32_e32 v161, 0                                      // 000000003714: 7F420280
	v_mov_b32_e32 v97, 0                                       // 000000003718: 7EC20280
	v_mov_b32_e32 v162, 0                                      // 00000000371C: 7F440280
	v_mov_b32_e32 v98, 0                                       // 000000003720: 7EC40280
	v_mov_b32_e32 v163, 0                                      // 000000003724: 7F460280
	v_mov_b32_e32 v99, 0                                       // 000000003728: 7EC60280
	v_mov_b32_e32 v164, 0                                      // 00000000372C: 7F480280
	v_mov_b32_e32 v100, 0                                      // 000000003730: 7EC80280
	v_mov_b32_e32 v165, 0                                      // 000000003734: 7F4A0280
	v_mov_b32_e32 v101, 0                                      // 000000003738: 7ECA0280
	v_mov_b32_e32 v166, 0                                      // 00000000373C: 7F4C0280
	v_mov_b32_e32 v102, 0                                      // 000000003740: 7ECC0280
	v_mov_b32_e32 v167, 0                                      // 000000003744: 7F4E0280
	v_mov_b32_e32 v103, 0                                      // 000000003748: 7ECE0280
	s_waitcnt vmcnt(20)                                        // 00000000374C: BF8C4F74
	s_barrier                                                  // 000000003750: BF8A0000
	ds_read_b64 v[168:169], v2 offset:2048                     // 000000003754: D8EC0800 A8000002
	ds_read_b64 v[172:173], v2 offset:10368                    // 00000000375C: D8EC2880 AC000002
	ds_read_b64 v[176:177], v2 offset:2176                     // 000000003764: D8EC0880 B0000002
	ds_read_b64 v[180:181], v2 offset:10496                    // 00000000376C: D8EC2900 B4000002
	ds_read_b64 v[184:185], v2 offset:2304                     // 000000003774: D8EC0900 B8000002
	ds_read_b64 v[188:189], v2 offset:10624                    // 00000000377C: D8EC2980 BC000002
	ds_read_b64 v[192:193], v2 offset:2432                     // 000000003784: D8EC0980 C0000002
	ds_read_b64 v[196:197], v2 offset:10752                    // 00000000378C: D8EC2A00 C4000002
	s_waitcnt lgkmcnt(0)                                       // 000000003794: BF8CC07F
	v_and_b32_e32 v171, 0xffff0000, v169                       // 000000003798: 275752FF FFFF0000
	v_lshlrev_b32_e32 v170, 16, v169                           // 0000000037A0: 25555290
	v_and_b32_e32 v169, 0xffff0000, v168                       // 0000000037A4: 275350FF FFFF0000
	v_lshlrev_b32_e32 v168, 16, v168                           // 0000000037AC: 25515090
	v_and_b32_e32 v175, 0xffff0000, v173                       // 0000000037B0: 275F5AFF FFFF0000
	v_lshlrev_b32_e32 v174, 16, v173                           // 0000000037B8: 255D5A90
	v_and_b32_e32 v173, 0xffff0000, v172                       // 0000000037BC: 275B58FF FFFF0000
	v_lshlrev_b32_e32 v172, 16, v172                           // 0000000037C4: 25595890
	v_and_b32_e32 v179, 0xffff0000, v177                       // 0000000037C8: 276762FF FFFF0000
	v_lshlrev_b32_e32 v178, 16, v177                           // 0000000037D0: 25656290
	v_and_b32_e32 v177, 0xffff0000, v176                       // 0000000037D4: 276360FF FFFF0000
	v_lshlrev_b32_e32 v176, 16, v176                           // 0000000037DC: 25616090
	v_and_b32_e32 v183, 0xffff0000, v181                       // 0000000037E0: 276F6AFF FFFF0000
	v_lshlrev_b32_e32 v182, 16, v181                           // 0000000037E8: 256D6A90
	v_and_b32_e32 v181, 0xffff0000, v180                       // 0000000037EC: 276B68FF FFFF0000
	v_lshlrev_b32_e32 v180, 16, v180                           // 0000000037F4: 25696890
	v_and_b32_e32 v187, 0xffff0000, v185                       // 0000000037F8: 277772FF FFFF0000
	v_lshlrev_b32_e32 v186, 16, v185                           // 000000003800: 25757290
	v_and_b32_e32 v185, 0xffff0000, v184                       // 000000003804: 277370FF FFFF0000
	v_lshlrev_b32_e32 v184, 16, v184                           // 00000000380C: 25717090
	v_and_b32_e32 v191, 0xffff0000, v189                       // 000000003810: 277F7AFF FFFF0000
	v_lshlrev_b32_e32 v190, 16, v189                           // 000000003818: 257D7A90
	v_and_b32_e32 v189, 0xffff0000, v188                       // 00000000381C: 277B78FF FFFF0000
	v_lshlrev_b32_e32 v188, 16, v188                           // 000000003824: 25797890
	v_and_b32_e32 v195, 0xffff0000, v193                       // 000000003828: 278782FF FFFF0000
	v_lshlrev_b32_e32 v194, 16, v193                           // 000000003830: 25858290
	v_and_b32_e32 v193, 0xffff0000, v192                       // 000000003834: 278380FF FFFF0000
	v_lshlrev_b32_e32 v192, 16, v192                           // 00000000383C: 25818090
	v_and_b32_e32 v199, 0xffff0000, v197                       // 000000003840: 278F8AFF FFFF0000
	v_lshlrev_b32_e32 v198, 16, v197                           // 000000003848: 258D8A90
	v_and_b32_e32 v197, 0xffff0000, v196                       // 00000000384C: 278B88FF FFFF0000
	v_lshlrev_b32_e32 v196, 16, v196                           // 000000003854: 25898890
	v_mul_f32_dpp v168, v14, v168 row_newbcast:0 row_mask:0xf bank_mask:0xf// 000000003858: 0B5150FA FF01500E
	v_mul_f32_dpp v169, v14, v169 row_newbcast:1 row_mask:0xf bank_mask:0xf// 000000003860: 0B5352FA FF01510E
	v_mul_f32_dpp v170, v14, v170 row_newbcast:2 row_mask:0xf bank_mask:0xf// 000000003868: 0B5554FA FF01520E
	v_mul_f32_dpp v171, v14, v171 row_newbcast:3 row_mask:0xf bank_mask:0xf// 000000003870: 0B5756FA FF01530E
	v_mul_f32_dpp v172, v14, v172 row_newbcast:0 row_mask:0xf bank_mask:0xf// 000000003878: 0B5958FA FF01500E
	v_mul_f32_dpp v173, v14, v173 row_newbcast:1 row_mask:0xf bank_mask:0xf// 000000003880: 0B5B5AFA FF01510E
	v_mul_f32_dpp v174, v14, v174 row_newbcast:2 row_mask:0xf bank_mask:0xf// 000000003888: 0B5D5CFA FF01520E
	v_mul_f32_dpp v175, v14, v175 row_newbcast:3 row_mask:0xf bank_mask:0xf// 000000003890: 0B5F5EFA FF01530E
	v_mul_f32_dpp v176, v14, v176 row_newbcast:4 row_mask:0xf bank_mask:0xf// 000000003898: 0B6160FA FF01540E
	v_mul_f32_dpp v177, v14, v177 row_newbcast:5 row_mask:0xf bank_mask:0xf// 0000000038A0: 0B6362FA FF01550E
	v_mul_f32_dpp v178, v14, v178 row_newbcast:6 row_mask:0xf bank_mask:0xf// 0000000038A8: 0B6564FA FF01560E
	v_mul_f32_dpp v179, v14, v179 row_newbcast:7 row_mask:0xf bank_mask:0xf// 0000000038B0: 0B6766FA FF01570E
	v_mul_f32_dpp v180, v14, v180 row_newbcast:4 row_mask:0xf bank_mask:0xf// 0000000038B8: 0B6968FA FF01540E
	v_mul_f32_dpp v181, v14, v181 row_newbcast:5 row_mask:0xf bank_mask:0xf// 0000000038C0: 0B6B6AFA FF01550E
	v_mul_f32_dpp v182, v14, v182 row_newbcast:6 row_mask:0xf bank_mask:0xf// 0000000038C8: 0B6D6CFA FF01560E
	v_mul_f32_dpp v183, v14, v183 row_newbcast:7 row_mask:0xf bank_mask:0xf// 0000000038D0: 0B6F6EFA FF01570E
	v_mul_f32_dpp v184, v14, v184 row_newbcast:8 row_mask:0xf bank_mask:0xf// 0000000038D8: 0B7170FA FF01580E
	v_mul_f32_dpp v185, v14, v185 row_newbcast:9 row_mask:0xf bank_mask:0xf// 0000000038E0: 0B7372FA FF01590E
	v_mul_f32_dpp v186, v14, v186 row_newbcast:10 row_mask:0xf bank_mask:0xf// 0000000038E8: 0B7574FA FF015A0E
	v_mul_f32_dpp v187, v14, v187 row_newbcast:11 row_mask:0xf bank_mask:0xf// 0000000038F0: 0B7776FA FF015B0E
	v_mul_f32_dpp v188, v14, v188 row_newbcast:8 row_mask:0xf bank_mask:0xf// 0000000038F8: 0B7978FA FF01580E
	v_mul_f32_dpp v189, v14, v189 row_newbcast:9 row_mask:0xf bank_mask:0xf// 000000003900: 0B7B7AFA FF01590E
	v_mul_f32_dpp v190, v14, v190 row_newbcast:10 row_mask:0xf bank_mask:0xf// 000000003908: 0B7D7CFA FF015A0E
	v_mul_f32_dpp v191, v14, v191 row_newbcast:11 row_mask:0xf bank_mask:0xf// 000000003910: 0B7F7EFA FF015B0E
	v_mul_f32_dpp v192, v14, v192 row_newbcast:12 row_mask:0xf bank_mask:0xf// 000000003918: 0B8180FA FF015C0E
	v_mul_f32_dpp v193, v14, v193 row_newbcast:13 row_mask:0xf bank_mask:0xf// 000000003920: 0B8382FA FF015D0E
	v_mul_f32_dpp v194, v14, v194 row_newbcast:14 row_mask:0xf bank_mask:0xf// 000000003928: 0B8584FA FF015E0E
	v_mul_f32_dpp v195, v14, v195 row_newbcast:15 row_mask:0xf bank_mask:0xf// 000000003930: 0B8786FA FF015F0E
	v_mul_f32_dpp v196, v14, v196 row_newbcast:12 row_mask:0xf bank_mask:0xf// 000000003938: 0B8988FA FF015C0E
	v_mul_f32_dpp v197, v14, v197 row_newbcast:13 row_mask:0xf bank_mask:0xf// 000000003940: 0B8B8AFA FF015D0E
	v_mul_f32_dpp v198, v14, v198 row_newbcast:14 row_mask:0xf bank_mask:0xf// 000000003948: 0B8D8CFA FF015E0E
	v_mul_f32_dpp v199, v14, v199 row_newbcast:15 row_mask:0xf bank_mask:0xf// 000000003950: 0B8F8EFA FF015F0E
	v_mov_b32_e32 v46, 0x358637bd                              // 000000003958: 7E5C02FF 358637BD
	v_mov_b32_e32 v47, 0x358637bd                              // 000000003960: 7E5E02FF 358637BD
	v_max3_f32 v46, |v168|, |v169|, v46                        // 000000003968: D1D3032E 04BB53A8
	v_max3_f32 v46, |v170|, |v171|, v46                        // 000000003970: D1D3032E 04BB57AA
	v_max3_f32 v47, |v172|, |v173|, v47                        // 000000003978: D1D3032F 04BF5BAC
	v_max3_f32 v47, |v174|, |v175|, v47                        // 000000003980: D1D3032F 04BF5FAE
	v_max3_f32 v46, |v176|, |v177|, v46                        // 000000003988: D1D3032E 04BB63B0
	v_max3_f32 v46, |v178|, |v179|, v46                        // 000000003990: D1D3032E 04BB67B2
	v_max3_f32 v47, |v180|, |v181|, v47                        // 000000003998: D1D3032F 04BF6BB4
	v_max3_f32 v47, |v182|, |v183|, v47                        // 0000000039A0: D1D3032F 04BF6FB6
	v_max3_f32 v46, |v184|, |v185|, v46                        // 0000000039A8: D1D3032E 04BB73B8
	v_max3_f32 v46, |v186|, |v187|, v46                        // 0000000039B0: D1D3032E 04BB77BA
	v_max3_f32 v47, |v188|, |v189|, v47                        // 0000000039B8: D1D3032F 04BF7BBC
	v_max3_f32 v47, |v190|, |v191|, v47                        // 0000000039C0: D1D3032F 04BF7FBE
	v_max3_f32 v46, |v192|, |v193|, v46                        // 0000000039C8: D1D3032E 04BB83C0
	v_max3_f32 v46, |v194|, |v195|, v46                        // 0000000039D0: D1D3032E 04BB87C2
	v_max3_f32 v47, |v196|, |v197|, v47                        // 0000000039D8: D1D3032F 04BF8BC4
	v_max3_f32 v47, |v198|, |v199|, v47                        // 0000000039E0: D1D3032F 04BF8FC6
	ds_write_b64 v3, v[46:47]                                  // 0000000039E8: D89A0000 00002E03
	s_waitcnt lgkmcnt(0)                                       // 0000000039F0: BF8CC07F
	s_barrier                                                  // 0000000039F4: BF8A0000
	ds_read_b64 v[46:47], v4                                   // 0000000039F8: D8EC0000 2E000004
	ds_read_b64 v[48:49], v4 offset:128                        // 000000003A00: D8EC0080 30000004
	ds_read_b64 v[50:51], v4 offset:256                        // 000000003A08: D8EC0100 32000004
	ds_read_b64 v[52:53], v4 offset:384                        // 000000003A10: D8EC0180 34000004
	ds_read_b64 v[54:55], v4 offset:512                        // 000000003A18: D8EC0200 36000004
	ds_read_b64 v[56:57], v4 offset:640                        // 000000003A20: D8EC0280 38000004
	ds_read_b64 v[58:59], v4 offset:768                        // 000000003A28: D8EC0300 3A000004
	ds_read_b64 v[60:61], v4 offset:896                        // 000000003A30: D8EC0380 3C000004
	s_waitcnt lgkmcnt(0)                                       // 000000003A38: BF8CC07F
	v_mov_b32_e32 v22, 0x358637bd                              // 000000003A3C: 7E2C02FF 358637BD
	v_mov_b32_e32 v23, 0x358637bd                              // 000000003A44: 7E2E02FF 358637BD
	v_max3_f32 v22, |v46|, |v48|, v22                          // 000000003A4C: D1D30316 045A612E
	v_max3_f32 v23, |v47|, |v49|, v23                          // 000000003A54: D1D30317 045E632F
	v_max3_f32 v22, |v50|, |v52|, v22                          // 000000003A5C: D1D30316 045A6932
	v_max3_f32 v23, |v51|, |v53|, v23                          // 000000003A64: D1D30317 045E6B33
	v_max3_f32 v22, |v54|, |v56|, v22                          // 000000003A6C: D1D30316 045A7136
	v_max3_f32 v23, |v55|, |v57|, v23                          // 000000003A74: D1D30317 045E7337
	v_max3_f32 v22, |v58|, |v60|, v22                          // 000000003A7C: D1D30316 045A793A
	v_max3_f32 v23, |v59|, |v61|, v23                          // 000000003A84: D1D30317 045E7B3B
	ds_read_b64 v[46:47], v4 offset:1024                       // 000000003A8C: D8EC0400 2E000004
	ds_read_b64 v[48:49], v4 offset:1152                       // 000000003A94: D8EC0480 30000004
	ds_read_b64 v[50:51], v4 offset:1280                       // 000000003A9C: D8EC0500 32000004
	ds_read_b64 v[52:53], v4 offset:1408                       // 000000003AA4: D8EC0580 34000004
	ds_read_b64 v[54:55], v4 offset:1536                       // 000000003AAC: D8EC0600 36000004
	ds_read_b64 v[56:57], v4 offset:1664                       // 000000003AB4: D8EC0680 38000004
	ds_read_b64 v[58:59], v4 offset:1792                       // 000000003ABC: D8EC0700 3A000004
	ds_read_b64 v[60:61], v4 offset:1920                       // 000000003AC4: D8EC0780 3C000004
	s_waitcnt lgkmcnt(0)                                       // 000000003ACC: BF8CC07F
	v_max3_f32 v22, |v46|, |v48|, v22                          // 000000003AD0: D1D30316 045A612E
	v_max3_f32 v23, |v47|, |v49|, v23                          // 000000003AD8: D1D30317 045E632F
	v_max3_f32 v22, |v50|, |v52|, v22                          // 000000003AE0: D1D30316 045A6932
	v_max3_f32 v23, |v51|, |v53|, v23                          // 000000003AE8: D1D30317 045E6B33
	v_max3_f32 v22, |v54|, |v56|, v22                          // 000000003AF0: D1D30316 045A7136
	v_max3_f32 v23, |v55|, |v57|, v23                          // 000000003AF8: D1D30317 045E7337
	v_max3_f32 v22, |v58|, |v60|, v22                          // 000000003B00: D1D30316 045A793A
	v_max3_f32 v23, |v59|, |v61|, v23                          // 000000003B08: D1D30317 045E7B3B
	v_mov_b32_e32 v42, 0x43700000                              // 000000003B10: 7E5402FF 43700000
	v_rcp_f32_e32 v22, v22                                     // 000000003B18: 7E2C4516
	v_rcp_f32_e32 v23, v23                                     // 000000003B1C: 7E2E4517
	s_nop 1                                                    // 000000003B20: BF800001
	v_mul_f32_e32 v22, v42, v22                                // 000000003B24: 0A2C2D2A
	v_mul_f32_e32 v23, v42, v23                                // 000000003B28: 0A2E2F2A
	v_rcp_f32_e32 v24, v22                                     // 000000003B2C: 7E304516
	v_rcp_f32_e32 v25, v23                                     // 000000003B30: 7E324517
	v_mov_b32_e32 v42, v22                                     // 000000003B34: 7E540316
	v_mov_b32_e32 v43, v22                                     // 000000003B38: 7E560316
	v_mov_b32_e32 v44, v23                                     // 000000003B3C: 7E580317
	v_mov_b32_e32 v45, v23                                     // 000000003B40: 7E5A0317
	v_pk_mul_f32 v[168:169], v[42:43], v[168:169]              // 000000003B44: D3B140A8 1803512A
	v_pk_mul_f32 v[170:171], v[42:43], v[170:171]              // 000000003B4C: D3B140AA 1803552A
	v_cvt_pk_fp8_f32 v168, v168, v169                          // 000000003B54: D2A200A8 000353A8
	v_cvt_pk_fp8_f32 v168, v170, v171 op_sel:[0,0,1]           // 000000003B5C: D2A240A8 000357AA
	v_pk_mul_f32 v[172:173], v[44:45], v[172:173]              // 000000003B64: D3B140AC 1803592C
	v_pk_mul_f32 v[174:175], v[44:45], v[174:175]              // 000000003B6C: D3B140AE 18035D2C
	v_cvt_pk_fp8_f32 v169, v172, v173                          // 000000003B74: D2A200A9 00035BAC
	v_cvt_pk_fp8_f32 v169, v174, v175 op_sel:[0,0,1]           // 000000003B7C: D2A240A9 00035FAE
	v_pk_mul_f32 v[176:177], v[42:43], v[176:177]              // 000000003B84: D3B140B0 1803612A
	v_pk_mul_f32 v[178:179], v[42:43], v[178:179]              // 000000003B8C: D3B140B2 1803652A
	v_cvt_pk_fp8_f32 v170, v176, v177                          // 000000003B94: D2A200AA 000363B0
	v_cvt_pk_fp8_f32 v170, v178, v179 op_sel:[0,0,1]           // 000000003B9C: D2A240AA 000367B2
	v_pk_mul_f32 v[180:181], v[44:45], v[180:181]              // 000000003BA4: D3B140B4 1803692C
	v_pk_mul_f32 v[182:183], v[44:45], v[182:183]              // 000000003BAC: D3B140B6 18036D2C
	v_cvt_pk_fp8_f32 v171, v180, v181                          // 000000003BB4: D2A200AB 00036BB4
	v_cvt_pk_fp8_f32 v171, v182, v183 op_sel:[0,0,1]           // 000000003BBC: D2A240AB 00036FB6
	v_pk_mul_f32 v[184:185], v[42:43], v[184:185]              // 000000003BC4: D3B140B8 1803712A
	v_pk_mul_f32 v[186:187], v[42:43], v[186:187]              // 000000003BCC: D3B140BA 1803752A
	v_cvt_pk_fp8_f32 v172, v184, v185                          // 000000003BD4: D2A200AC 000373B8
	v_cvt_pk_fp8_f32 v172, v186, v187 op_sel:[0,0,1]           // 000000003BDC: D2A240AC 000377BA
	v_pk_mul_f32 v[188:189], v[44:45], v[188:189]              // 000000003BE4: D3B140BC 1803792C
	v_pk_mul_f32 v[190:191], v[44:45], v[190:191]              // 000000003BEC: D3B140BE 18037D2C
	v_cvt_pk_fp8_f32 v173, v188, v189                          // 000000003BF4: D2A200AD 00037BBC
	v_cvt_pk_fp8_f32 v173, v190, v191 op_sel:[0,0,1]           // 000000003BFC: D2A240AD 00037FBE
	v_pk_mul_f32 v[192:193], v[42:43], v[192:193]              // 000000003C04: D3B140C0 1803812A
	v_pk_mul_f32 v[194:195], v[42:43], v[194:195]              // 000000003C0C: D3B140C2 1803852A
	v_cvt_pk_fp8_f32 v174, v192, v193                          // 000000003C14: D2A200AE 000383C0
	v_cvt_pk_fp8_f32 v174, v194, v195 op_sel:[0,0,1]           // 000000003C1C: D2A240AE 000387C2
	v_pk_mul_f32 v[196:197], v[44:45], v[196:197]              // 000000003C24: D3B140C4 1803892C
	v_pk_mul_f32 v[198:199], v[44:45], v[198:199]              // 000000003C2C: D3B140C6 18038D2C
	v_cvt_pk_fp8_f32 v175, v196, v197                          // 000000003C34: D2A200AF 00038BC4
	v_cvt_pk_fp8_f32 v175, v198, v199 op_sel:[0,0,1]           // 000000003C3C: D2A240AF 00038FC6
	ds_write_b32 v12, v168 offset:2048                         // 000000003C44: D81A0800 0000A80C
	ds_write_b32 v12, v169 offset:6144                         // 000000003C4C: D81A1800 0000A90C
	ds_write_b32 v12, v170 offset:3072                         // 000000003C54: D81A0C00 0000AA0C
	ds_write_b32 v12, v171 offset:7168                         // 000000003C5C: D81A1C00 0000AB0C
	ds_write_b32 v12, v172 offset:4096                         // 000000003C64: D81A1000 0000AC0C
	ds_write_b32 v12, v173 offset:8192                         // 000000003C6C: D81A2000 0000AD0C
	ds_write_b32 v12, v174 offset:5120                         // 000000003C74: D81A1400 0000AE0C
	ds_write_b32 v12, v175 offset:9216                         // 000000003C7C: D81A2400 0000AF0C
	s_waitcnt lgkmcnt(0)                                       // 000000003C84: BF8CC07F
	s_barrier                                                  // 000000003C88: BF8A0000
	ds_read_b64 v[168:169], v13 offset:2048                    // 000000003C8C: D8EC0800 A800000D
	ds_read_b64 v[170:171], v13 offset:2176                    // 000000003C94: D8EC0880 AA00000D
	ds_read_b64 v[172:173], v13 offset:3072                    // 000000003C9C: D8EC0C00 AC00000D
	ds_read_b64 v[174:175], v13 offset:3200                    // 000000003CA4: D8EC0C80 AE00000D
	ds_read_b64 v[176:177], v13 offset:4096                    // 000000003CAC: D8EC1000 B000000D
	ds_read_b64 v[178:179], v13 offset:4224                    // 000000003CB4: D8EC1080 B200000D
	ds_read_b64 v[180:181], v13 offset:5120                    // 000000003CBC: D8EC1400 B400000D
	ds_read_b64 v[182:183], v13 offset:5248                    // 000000003CC4: D8EC1480 B600000D
	ds_read_b64 v[184:185], v13 offset:6144                    // 000000003CCC: D8EC1800 B800000D
	ds_read_b64 v[186:187], v13 offset:6272                    // 000000003CD4: D8EC1880 BA00000D
	ds_read_b64 v[188:189], v13 offset:7168                    // 000000003CDC: D8EC1C00 BC00000D
	ds_read_b64 v[190:191], v13 offset:7296                    // 000000003CE4: D8EC1C80 BE00000D
	ds_read_b64 v[192:193], v13 offset:8192                    // 000000003CEC: D8EC2000 C000000D
	ds_read_b64 v[194:195], v13 offset:8320                    // 000000003CF4: D8EC2080 C200000D
	ds_read_b64 v[196:197], v13 offset:9216                    // 000000003CFC: D8EC2400 C400000D
	ds_read_b64 v[198:199], v13 offset:9344                    // 000000003D04: D8EC2480 C600000D
	s_cmp_lt_i32 s5, 2                                         // 000000003D0C: BF048205
	s_cbranch_scc0 label_152D                                  // 000000003D10: BF841168

0000000000003d14 <label_03C5>:
	v_rcp_f32_e32 v42, v24                                     // 000000003D14: 7E544518
	v_rcp_f32_e32 v44, v25                                     // 000000003D18: 7E584519
	v_mov_b32_e32 v43, v42                                     // 000000003D1C: 7E56032A
	v_mov_b32_e32 v45, v44                                     // 000000003D20: 7E5A032C
	v_pk_mul_f32 v[128:129], v[42:43], v[128:129]              // 000000003D24: D3B14080 1803012A
	v_pk_mul_f32 v[130:131], v[42:43], v[130:131]              // 000000003D2C: D3B14082 1803052A
	v_pk_mul_f32 v[132:133], v[44:45], v[132:133]              // 000000003D34: D3B14084 1803092C
	v_pk_mul_f32 v[134:135], v[44:45], v[134:135]              // 000000003D3C: D3B14086 18030D2C
	v_pk_mul_f32 v[136:137], v[42:43], v[136:137]              // 000000003D44: D3B14088 1803112A
	v_pk_mul_f32 v[138:139], v[42:43], v[138:139]              // 000000003D4C: D3B1408A 1803152A
	v_pk_mul_f32 v[140:141], v[44:45], v[140:141]              // 000000003D54: D3B1408C 1803192C
	v_pk_mul_f32 v[142:143], v[44:45], v[142:143]              // 000000003D5C: D3B1408E 18031D2C
	v_pk_mul_f32 v[144:145], v[42:43], v[144:145]              // 000000003D64: D3B14090 1803212A
	v_pk_mul_f32 v[146:147], v[42:43], v[146:147]              // 000000003D6C: D3B14092 1803252A
	v_pk_mul_f32 v[148:149], v[44:45], v[148:149]              // 000000003D74: D3B14094 1803292C
	v_pk_mul_f32 v[150:151], v[44:45], v[150:151]              // 000000003D7C: D3B14096 18032D2C
	v_pk_mul_f32 v[152:153], v[42:43], v[152:153]              // 000000003D84: D3B14098 1803312A
	v_pk_mul_f32 v[154:155], v[42:43], v[154:155]              // 000000003D8C: D3B1409A 1803352A
	v_pk_mul_f32 v[156:157], v[44:45], v[156:157]              // 000000003D94: D3B1409C 1803392C
	v_pk_mul_f32 v[158:159], v[44:45], v[158:159]              // 000000003D9C: D3B1409E 18033D2C
	v_pk_mul_f32 v[160:161], v[42:43], v[160:161]              // 000000003DA4: D3B140A0 1803412A
	v_pk_mul_f32 v[162:163], v[42:43], v[162:163]              // 000000003DAC: D3B140A2 1803452A
	v_pk_mul_f32 v[164:165], v[44:45], v[164:165]              // 000000003DB4: D3B140A4 1803492C
	v_pk_mul_f32 v[166:167], v[44:45], v[166:167]              // 000000003DBC: D3B140A6 18034D2C
	s_waitcnt vmcnt(12) lgkmcnt(0)                             // 000000003DC4: BF8C007C
	s_barrier                                                  // 000000003DC8: BF8A0000
	v_mfma_f32_16x16x32_fp8_fp8 v[128:131], a[0:1], v[168:169], v[128:131]// 000000003DCC: D3F30080 0E035100
	v_mfma_f32_16x16x32_fp8_fp8 v[128:131], a[2:3], v[170:171], v[128:131]// 000000003DD4: D3F30080 0E035502
	buffer_load_dwordx4 a[80:83], v36, s[92:95], 0 offen       // 000000003DDC: E05C1000 80975024
	v_mfma_f32_16x16x32_fp8_fp8 v[128:131], a[4:5], v[172:173], v[128:131]// 000000003DE4: D3F30080 0E035904
	v_mfma_f32_16x16x32_fp8_fp8 v[128:131], a[6:7], v[174:175], v[128:131]// 000000003DEC: D3F30080 0E035D06
	buffer_load_dword v28, s[20:23], 0 offen lds               // 000000003DF4: E0511000 8005001C
	buffer_load_dword v28, s[20:23], 0 offen offset:256 lds    // 000000003DFC: E0511100 8005001C
	s_add_u32 m0, 0x820, s51                                   // 000000003E04: 807C33FF 00000820
	v_mfma_f32_16x16x32_fp8_fp8 v[128:131], a[8:9], v[176:177], v[128:131]// 000000003E0C: D3F30080 0E036108
	v_mfma_f32_16x16x32_fp8_fp8 v[128:131], a[10:11], v[178:179], v[128:131]// 000000003E14: D3F30080 0E03650A
	buffer_load_dwordx4 a[84:87], v36, s[92:95], 0 offen offset:1024// 000000003E1C: E05C1400 80975424
	v_mfma_f32_16x16x32_fp8_fp8 v[128:131], a[12:13], v[180:181], v[128:131]// 000000003E24: D3F30080 0E03690C
	v_mfma_f32_16x16x32_fp8_fp8 v[128:131], a[14:15], v[182:183], v[128:131]// 000000003E2C: D3F30080 0E036D0E
	buffer_load_dword v29, s[20:23], 0 offen lds               // 000000003E34: E0511000 8005001D
	buffer_load_dword v29, s[20:23], 0 offen offset:256 lds    // 000000003E3C: E0511100 8005001D
	s_add_u32 m0, 0x1040, s51                                  // 000000003E44: 807C33FF 00001040
	v_mfma_f32_16x16x32_fp8_fp8 v[132:135], a[0:1], v[184:185], v[132:135]// 000000003E4C: D3F30084 0E137100
	v_mfma_f32_16x16x32_fp8_fp8 v[132:135], a[2:3], v[186:187], v[132:135]// 000000003E54: D3F30084 0E137502
	buffer_load_dwordx4 a[88:91], v36, s[92:95], 0 offen offset:2048// 000000003E5C: E05C1800 80975824
	v_mfma_f32_16x16x32_fp8_fp8 v[132:135], a[4:5], v[188:189], v[132:135]// 000000003E64: D3F30084 0E137904
	v_mfma_f32_16x16x32_fp8_fp8 v[132:135], a[6:7], v[190:191], v[132:135]// 000000003E6C: D3F30084 0E137D06
	buffer_load_dword v30, s[20:23], 0 offen lds               // 000000003E74: E0511000 8005001E
	buffer_load_dword v30, s[20:23], 0 offen offset:256 lds    // 000000003E7C: E0511100 8005001E
	s_add_u32 m0, 0x1860, s51                                  // 000000003E84: 807C33FF 00001860
	v_mfma_f32_16x16x32_fp8_fp8 v[132:135], a[8:9], v[192:193], v[132:135]// 000000003E8C: D3F30084 0E138108
	v_mfma_f32_16x16x32_fp8_fp8 v[132:135], a[10:11], v[194:195], v[132:135]// 000000003E94: D3F30084 0E13850A
	buffer_load_dwordx4 a[92:95], v36, s[92:95], 0 offen offset:3072// 000000003E9C: E05C1C00 80975C24
	v_mfma_f32_16x16x32_fp8_fp8 v[132:135], a[12:13], v[196:197], v[132:135]// 000000003EA4: D3F30084 0E13890C
	v_mfma_f32_16x16x32_fp8_fp8 v[132:135], a[14:15], v[198:199], v[132:135]// 000000003EAC: D3F30084 0E138D0E
	buffer_load_dword v31, s[20:23], 0 offen lds               // 000000003EB4: E0511000 8005001F
	buffer_load_dword v31, s[20:23], 0 offen offset:256 lds    // 000000003EBC: E0511100 8005001F
	s_add_u32 m0, 0x2080, s51                                  // 000000003EC4: 807C33FF 00002080
	v_mfma_f32_16x16x32_fp8_fp8 v[136:139], a[16:17], v[168:169], v[136:139]// 000000003ECC: D3F30088 0E235110
	v_mfma_f32_16x16x32_fp8_fp8 v[136:139], a[18:19], v[170:171], v[136:139]// 000000003ED4: D3F30088 0E235512
	buffer_load_dwordx4 a[96:99], v37, s[92:95], 0 offen       // 000000003EDC: E05C1000 80976025
	v_mfma_f32_16x16x32_fp8_fp8 v[136:139], a[20:21], v[172:173], v[136:139]// 000000003EE4: D3F30088 0E235914
	v_mfma_f32_16x16x32_fp8_fp8 v[136:139], a[22:23], v[174:175], v[136:139]// 000000003EEC: D3F30088 0E235D16
	buffer_load_dword v32, s[20:23], 0 offen lds               // 000000003EF4: E0511000 80050020
	buffer_load_dword v32, s[20:23], 0 offen offset:256 lds    // 000000003EFC: E0511100 80050020
	s_add_u32 m0, 0x28a0, s51                                  // 000000003F04: 807C33FF 000028A0
	v_mfma_f32_16x16x32_fp8_fp8 v[136:139], a[24:25], v[176:177], v[136:139]// 000000003F0C: D3F30088 0E236118
	v_mfma_f32_16x16x32_fp8_fp8 v[136:139], a[26:27], v[178:179], v[136:139]// 000000003F14: D3F30088 0E23651A
	buffer_load_dwordx4 a[100:103], v37, s[92:95], 0 offen offset:1024// 000000003F1C: E05C1400 80976425
	v_mfma_f32_16x16x32_fp8_fp8 v[136:139], a[28:29], v[180:181], v[136:139]// 000000003F24: D3F30088 0E23691C
	v_mfma_f32_16x16x32_fp8_fp8 v[136:139], a[30:31], v[182:183], v[136:139]// 000000003F2C: D3F30088 0E236D1E
	buffer_load_dword v33, s[20:23], 0 offen lds               // 000000003F34: E0511000 80050021
	buffer_load_dword v33, s[20:23], 0 offen offset:256 lds    // 000000003F3C: E0511100 80050021
	s_add_u32 m0, 0x30c0, s51                                  // 000000003F44: 807C33FF 000030C0
	v_mfma_f32_16x16x32_fp8_fp8 v[140:143], a[16:17], v[184:185], v[140:143]// 000000003F4C: D3F3008C 0E337110
	v_mfma_f32_16x16x32_fp8_fp8 v[140:143], a[18:19], v[186:187], v[140:143]// 000000003F54: D3F3008C 0E337512
	buffer_load_dwordx4 a[104:107], v37, s[92:95], 0 offen offset:2048// 000000003F5C: E05C1800 80976825
	v_mfma_f32_16x16x32_fp8_fp8 v[140:143], a[20:21], v[188:189], v[140:143]// 000000003F64: D3F3008C 0E337914
	v_mfma_f32_16x16x32_fp8_fp8 v[140:143], a[22:23], v[190:191], v[140:143]// 000000003F6C: D3F3008C 0E337D16
	buffer_load_dword v34, s[20:23], 0 offen lds               // 000000003F74: E0511000 80050022
	buffer_load_dword v34, s[20:23], 0 offen offset:256 lds    // 000000003F7C: E0511100 80050022
	s_add_u32 m0, 0x38e0, s51                                  // 000000003F84: 807C33FF 000038E0
	v_mfma_f32_16x16x32_fp8_fp8 v[140:143], a[24:25], v[192:193], v[140:143]// 000000003F8C: D3F3008C 0E338118
	v_mfma_f32_16x16x32_fp8_fp8 v[140:143], a[26:27], v[194:195], v[140:143]// 000000003F94: D3F3008C 0E33851A
	buffer_load_dwordx4 a[108:111], v37, s[92:95], 0 offen offset:3072// 000000003F9C: E05C1C00 80976C25
	v_mfma_f32_16x16x32_fp8_fp8 v[140:143], a[28:29], v[196:197], v[140:143]// 000000003FA4: D3F3008C 0E33891C
	v_mfma_f32_16x16x32_fp8_fp8 v[140:143], a[30:31], v[198:199], v[140:143]// 000000003FAC: D3F3008C 0E338D1E
	buffer_load_dword v35, s[20:23], 0 offen lds               // 000000003FB4: E0511000 80050023
	buffer_load_dword v35, s[20:23], 0 offen offset:256 lds    // 000000003FBC: E0511100 80050023
	s_add_u32 m0, 0, s50                                       // 000000003FC4: 807C3280
	buffer_load_dword v15, v6, s[28:31], 0 offen               // 000000003FC8: E0501000 80070F06
	s_waitcnt vmcnt(33)                                        // 000000003FD0: BF8C8F71
	v_mfma_f32_16x16x32_fp8_fp8 v[144:147], a[32:33], v[168:169], v[144:147]// 000000003FD4: D3F30090 0E435120
	v_mfma_f32_16x16x32_fp8_fp8 v[144:147], a[34:35], v[170:171], v[144:147]// 000000003FDC: D3F30090 0E435522
	buffer_load_dwordx4 a[112:115], v38, s[92:95], 0 offen     // 000000003FE4: E05C1000 80977026
	v_mfma_f32_16x16x32_fp8_fp8 v[144:147], a[36:37], v[172:173], v[144:147]// 000000003FEC: D3F30090 0E435924
	v_mfma_f32_16x16x32_fp8_fp8 v[144:147], a[38:39], v[174:175], v[144:147]// 000000003FF4: D3F30090 0E435D26
	v_mfma_f32_16x16x32_fp8_fp8 v[144:147], a[40:41], v[176:177], v[144:147]// 000000003FFC: D3F30090 0E436128
	v_mfma_f32_16x16x32_fp8_fp8 v[144:147], a[42:43], v[178:179], v[144:147]// 000000004004: D3F30090 0E43652A
	buffer_load_dwordx4 a[116:119], v38, s[92:95], 0 offen offset:1024// 00000000400C: E05C1400 80977426
	v_mfma_f32_16x16x32_fp8_fp8 v[144:147], a[44:45], v[180:181], v[144:147]// 000000004014: D3F30090 0E43692C
	v_mfma_f32_16x16x32_fp8_fp8 v[144:147], a[46:47], v[182:183], v[144:147]// 00000000401C: D3F30090 0E436D2E
	v_mfma_f32_16x16x32_fp8_fp8 v[148:151], a[32:33], v[184:185], v[148:151]// 000000004024: D3F30094 0E537120
	v_mfma_f32_16x16x32_fp8_fp8 v[148:151], a[34:35], v[186:187], v[148:151]// 00000000402C: D3F30094 0E537522
	buffer_load_dwordx4 a[120:123], v38, s[92:95], 0 offen offset:2048// 000000004034: E05C1800 80977826
	v_mfma_f32_16x16x32_fp8_fp8 v[148:151], a[36:37], v[188:189], v[148:151]// 00000000403C: D3F30094 0E537924
	v_mfma_f32_16x16x32_fp8_fp8 v[148:151], a[38:39], v[190:191], v[148:151]// 000000004044: D3F30094 0E537D26
	v_mfma_f32_16x16x32_fp8_fp8 v[148:151], a[40:41], v[192:193], v[148:151]// 00000000404C: D3F30094 0E538128
	v_mfma_f32_16x16x32_fp8_fp8 v[148:151], a[42:43], v[194:195], v[148:151]// 000000004054: D3F30094 0E53852A
	buffer_load_dwordx4 a[124:127], v38, s[92:95], 0 offen offset:3072// 00000000405C: E05C1C00 80977C26
	v_mfma_f32_16x16x32_fp8_fp8 v[148:151], a[44:45], v[196:197], v[148:151]// 000000004064: D3F30094 0E53892C
	v_mfma_f32_16x16x32_fp8_fp8 v[148:151], a[46:47], v[198:199], v[148:151]// 00000000406C: D3F30094 0E538D2E
	s_waitcnt vmcnt(33)                                        // 000000004074: BF8C8F71
	v_mfma_f32_16x16x32_fp8_fp8 v[152:155], a[48:49], v[168:169], v[152:155]// 000000004078: D3F30098 0E635130
	v_mfma_f32_16x16x32_fp8_fp8 v[152:155], a[50:51], v[170:171], v[152:155]// 000000004080: D3F30098 0E635532
	buffer_load_dwordx4 a[128:131], v39, s[92:95], 0 offen     // 000000004088: E05C1000 80978027
	v_mfma_f32_16x16x32_fp8_fp8 v[152:155], a[52:53], v[172:173], v[152:155]// 000000004090: D3F30098 0E635934
	v_mfma_f32_16x16x32_fp8_fp8 v[152:155], a[54:55], v[174:175], v[152:155]// 000000004098: D3F30098 0E635D36
	v_mfma_f32_16x16x32_fp8_fp8 v[152:155], a[56:57], v[176:177], v[152:155]// 0000000040A0: D3F30098 0E636138
	v_mfma_f32_16x16x32_fp8_fp8 v[152:155], a[58:59], v[178:179], v[152:155]// 0000000040A8: D3F30098 0E63653A
	buffer_load_dwordx4 a[132:135], v39, s[92:95], 0 offen offset:1024// 0000000040B0: E05C1400 80978427
	v_mfma_f32_16x16x32_fp8_fp8 v[152:155], a[60:61], v[180:181], v[152:155]// 0000000040B8: D3F30098 0E63693C
	v_mfma_f32_16x16x32_fp8_fp8 v[152:155], a[62:63], v[182:183], v[152:155]// 0000000040C0: D3F30098 0E636D3E
	v_mfma_f32_16x16x32_fp8_fp8 v[156:159], a[48:49], v[184:185], v[156:159]// 0000000040C8: D3F3009C 0E737130
	v_mfma_f32_16x16x32_fp8_fp8 v[156:159], a[50:51], v[186:187], v[156:159]// 0000000040D0: D3F3009C 0E737532
	buffer_load_dwordx4 a[136:139], v39, s[92:95], 0 offen offset:2048// 0000000040D8: E05C1800 80978827
	v_mfma_f32_16x16x32_fp8_fp8 v[156:159], a[52:53], v[188:189], v[156:159]// 0000000040E0: D3F3009C 0E737934
	v_mfma_f32_16x16x32_fp8_fp8 v[156:159], a[54:55], v[190:191], v[156:159]// 0000000040E8: D3F3009C 0E737D36
	v_mfma_f32_16x16x32_fp8_fp8 v[156:159], a[56:57], v[192:193], v[156:159]// 0000000040F0: D3F3009C 0E738138
	v_mfma_f32_16x16x32_fp8_fp8 v[156:159], a[58:59], v[194:195], v[156:159]// 0000000040F8: D3F3009C 0E73853A
	buffer_load_dwordx4 a[140:143], v39, s[92:95], 0 offen offset:3072// 000000004100: E05C1C00 80978C27
	v_mfma_f32_16x16x32_fp8_fp8 v[156:159], a[60:61], v[196:197], v[156:159]// 000000004108: D3F3009C 0E73893C
	v_mfma_f32_16x16x32_fp8_fp8 v[156:159], a[62:63], v[198:199], v[156:159]// 000000004110: D3F3009C 0E738D3E
	s_waitcnt vmcnt(33)                                        // 000000004118: BF8C8F71
	v_mfma_f32_16x16x32_fp8_fp8 v[160:163], a[64:65], v[168:169], v[160:163]// 00000000411C: D3F300A0 0E835140
	v_mfma_f32_16x16x32_fp8_fp8 v[160:163], a[66:67], v[170:171], v[160:163]// 000000004124: D3F300A0 0E835542
	buffer_load_dwordx4 a[144:147], v40, s[92:95], 0 offen     // 00000000412C: E05C1000 80979028
	v_mfma_f32_16x16x32_fp8_fp8 v[160:163], a[68:69], v[172:173], v[160:163]// 000000004134: D3F300A0 0E835944
	v_mfma_f32_16x16x32_fp8_fp8 v[160:163], a[70:71], v[174:175], v[160:163]// 00000000413C: D3F300A0 0E835D46
	v_mfma_f32_16x16x32_fp8_fp8 v[160:163], a[72:73], v[176:177], v[160:163]// 000000004144: D3F300A0 0E836148
	v_mfma_f32_16x16x32_fp8_fp8 v[160:163], a[74:75], v[178:179], v[160:163]// 00000000414C: D3F300A0 0E83654A
	buffer_load_dwordx4 a[148:151], v40, s[92:95], 0 offen offset:1024// 000000004154: E05C1400 80979428
	v_mfma_f32_16x16x32_fp8_fp8 v[160:163], a[76:77], v[180:181], v[160:163]// 00000000415C: D3F300A0 0E83694C
	v_mfma_f32_16x16x32_fp8_fp8 v[160:163], a[78:79], v[182:183], v[160:163]// 000000004164: D3F300A0 0E836D4E
	v_mfma_f32_16x16x32_fp8_fp8 v[164:167], a[64:65], v[184:185], v[164:167]// 00000000416C: D3F300A4 0E937140
	v_mfma_f32_16x16x32_fp8_fp8 v[164:167], a[66:67], v[186:187], v[164:167]// 000000004174: D3F300A4 0E937542
	buffer_load_dwordx4 a[152:155], v40, s[92:95], 0 offen offset:2048// 00000000417C: E05C1800 80979828
	v_mfma_f32_16x16x32_fp8_fp8 v[164:167], a[68:69], v[188:189], v[164:167]// 000000004184: D3F300A4 0E937944
	v_mfma_f32_16x16x32_fp8_fp8 v[164:167], a[70:71], v[190:191], v[164:167]// 00000000418C: D3F300A4 0E937D46
	v_mfma_f32_16x16x32_fp8_fp8 v[164:167], a[72:73], v[192:193], v[164:167]// 000000004194: D3F300A4 0E938148
	v_mfma_f32_16x16x32_fp8_fp8 v[164:167], a[74:75], v[194:195], v[164:167]// 00000000419C: D3F300A4 0E93854A
	buffer_load_dwordx4 a[156:159], v40, s[92:95], 0 offen offset:3072// 0000000041A4: E05C1C00 80979C28
	v_mfma_f32_16x16x32_fp8_fp8 v[164:167], a[76:77], v[196:197], v[164:167]// 0000000041AC: D3F300A4 0E93894C
	v_mfma_f32_16x16x32_fp8_fp8 v[164:167], a[78:79], v[198:199], v[164:167]// 0000000041B4: D3F300A4 0E938D4E
	v_mov_b32_e32 v42, v24                                     // 0000000041BC: 7E540318
	v_mov_b32_e32 v44, v25                                     // 0000000041C0: 7E580319
	v_mov_b32_e32 v43, v42                                     // 0000000041C4: 7E56032A
	v_mov_b32_e32 v45, v44                                     // 0000000041C8: 7E5A032C
	v_pk_mul_f32 v[128:129], v[42:43], v[128:129]              // 0000000041CC: D3B14080 1803012A
	v_pk_mul_f32 v[130:131], v[42:43], v[130:131]              // 0000000041D4: D3B14082 1803052A
	v_pk_mul_f32 v[132:133], v[44:45], v[132:133]              // 0000000041DC: D3B14084 1803092C
	v_pk_mul_f32 v[134:135], v[44:45], v[134:135]              // 0000000041E4: D3B14086 18030D2C
	v_pk_mul_f32 v[136:137], v[42:43], v[136:137]              // 0000000041EC: D3B14088 1803112A
	v_pk_mul_f32 v[138:139], v[42:43], v[138:139]              // 0000000041F4: D3B1408A 1803152A
	v_pk_mul_f32 v[140:141], v[44:45], v[140:141]              // 0000000041FC: D3B1408C 1803192C
	v_pk_mul_f32 v[142:143], v[44:45], v[142:143]              // 000000004204: D3B1408E 18031D2C
	v_pk_mul_f32 v[144:145], v[42:43], v[144:145]              // 00000000420C: D3B14090 1803212A
	v_pk_mul_f32 v[146:147], v[42:43], v[146:147]              // 000000004214: D3B14092 1803252A
	v_pk_mul_f32 v[148:149], v[44:45], v[148:149]              // 00000000421C: D3B14094 1803292C
	v_pk_mul_f32 v[150:151], v[44:45], v[150:151]              // 000000004224: D3B14096 18032D2C
	v_pk_mul_f32 v[152:153], v[42:43], v[152:153]              // 00000000422C: D3B14098 1803312A
	v_pk_mul_f32 v[154:155], v[42:43], v[154:155]              // 000000004234: D3B1409A 1803352A
	v_pk_mul_f32 v[156:157], v[44:45], v[156:157]              // 00000000423C: D3B1409C 1803392C
	v_pk_mul_f32 v[158:159], v[44:45], v[158:159]              // 000000004244: D3B1409E 18033D2C
	v_pk_mul_f32 v[160:161], v[42:43], v[160:161]              // 00000000424C: D3B140A0 1803412A
	v_pk_mul_f32 v[162:163], v[42:43], v[162:163]              // 000000004254: D3B140A2 1803452A
	v_pk_mul_f32 v[164:165], v[44:45], v[164:165]              // 00000000425C: D3B140A4 1803492C
	v_pk_mul_f32 v[166:167], v[44:45], v[166:167]              // 000000004264: D3B140A6 18034D2C
	v_rcp_f32_e32 v42, v24                                     // 00000000426C: 7E544518
	v_rcp_f32_e32 v44, v25                                     // 000000004270: 7E584519
	v_mov_b32_e32 v43, v42                                     // 000000004274: 7E56032A
	v_mov_b32_e32 v45, v44                                     // 000000004278: 7E5A032C
	v_pk_mul_f32 v[64:65], v[42:43], v[64:65]                  // 00000000427C: D3B14040 1802812A
	v_pk_mul_f32 v[66:67], v[42:43], v[66:67]                  // 000000004284: D3B14042 1802852A
	v_pk_mul_f32 v[68:69], v[44:45], v[68:69]                  // 00000000428C: D3B14044 1802892C
	v_pk_mul_f32 v[70:71], v[44:45], v[70:71]                  // 000000004294: D3B14046 18028D2C
	v_pk_mul_f32 v[72:73], v[42:43], v[72:73]                  // 00000000429C: D3B14048 1802912A
	v_pk_mul_f32 v[74:75], v[42:43], v[74:75]                  // 0000000042A4: D3B1404A 1802952A
	v_pk_mul_f32 v[76:77], v[44:45], v[76:77]                  // 0000000042AC: D3B1404C 1802992C
	v_pk_mul_f32 v[78:79], v[44:45], v[78:79]                  // 0000000042B4: D3B1404E 18029D2C
	v_pk_mul_f32 v[80:81], v[42:43], v[80:81]                  // 0000000042BC: D3B14050 1802A12A
	v_pk_mul_f32 v[82:83], v[42:43], v[82:83]                  // 0000000042C4: D3B14052 1802A52A
	v_pk_mul_f32 v[84:85], v[44:45], v[84:85]                  // 0000000042CC: D3B14054 1802A92C
	v_pk_mul_f32 v[86:87], v[44:45], v[86:87]                  // 0000000042D4: D3B14056 1802AD2C
	v_pk_mul_f32 v[88:89], v[42:43], v[88:89]                  // 0000000042DC: D3B14058 1802B12A
	v_pk_mul_f32 v[90:91], v[42:43], v[90:91]                  // 0000000042E4: D3B1405A 1802B52A
	v_pk_mul_f32 v[92:93], v[44:45], v[92:93]                  // 0000000042EC: D3B1405C 1802B92C
	v_pk_mul_f32 v[94:95], v[44:45], v[94:95]                  // 0000000042F4: D3B1405E 1802BD2C
	v_pk_mul_f32 v[96:97], v[42:43], v[96:97]                  // 0000000042FC: D3B14060 1802C12A
	v_pk_mul_f32 v[98:99], v[42:43], v[98:99]                  // 000000004304: D3B14062 1802C52A
	v_pk_mul_f32 v[100:101], v[44:45], v[100:101]              // 00000000430C: D3B14064 1802C92C
	v_pk_mul_f32 v[102:103], v[44:45], v[102:103]              // 000000004314: D3B14066 1802CD2C
	s_waitcnt vmcnt(12)                                        // 00000000431C: BF8C0F7C
	s_barrier                                                  // 000000004320: BF8A0000
	v_mfma_f32_16x16x32_fp8_fp8 v[64:67], a[80:81], v[168:169], v[64:67]// 000000004324: D3F30040 0D035150
	ds_read_b64 v[200:201], v2 offset:18688                    // 00000000432C: D8EC4900 C8000002
	ds_read_b64 v[204:205], v2 offset:27008                    // 000000004334: D8EC6980 CC000002
	v_mfma_f32_16x16x32_fp8_fp8 v[64:67], a[82:83], v[170:171], v[64:67]// 00000000433C: D3F30040 0D035552
	buffer_load_dwordx4 a[0:3], v36, s[24:27], 0 offen         // 000000004344: E05C1000 80860024
	v_mfma_f32_16x16x32_fp8_fp8 v[64:67], a[84:85], v[172:173], v[64:67]// 00000000434C: D3F30040 0D035954
	ds_read_b64 v[208:209], v2 offset:18816                    // 000000004354: D8EC4980 D0000002
	ds_read_b64 v[212:213], v2 offset:27136                    // 00000000435C: D8EC6A00 D4000002
	v_mfma_f32_16x16x32_fp8_fp8 v[64:67], a[86:87], v[174:175], v[64:67]// 000000004364: D3F30040 0D035D56
	v_mfma_f32_16x16x32_fp8_fp8 v[64:67], a[88:89], v[176:177], v[64:67]// 00000000436C: D3F30040 0D036158
	ds_read_b64 v[216:217], v2 offset:18944                    // 000000004374: D8EC4A00 D8000002
	ds_read_b64 v[220:221], v2 offset:27264                    // 00000000437C: D8EC6A80 DC000002
	v_mfma_f32_16x16x32_fp8_fp8 v[64:67], a[90:91], v[178:179], v[64:67]// 000000004384: D3F30040 0D03655A
	buffer_load_dwordx4 a[4:7], v36, s[24:27], 0 offen offset:1024// 00000000438C: E05C1400 80860424
	v_mfma_f32_16x16x32_fp8_fp8 v[64:67], a[92:93], v[180:181], v[64:67]// 000000004394: D3F30040 0D03695C
	ds_read_b64 v[224:225], v2 offset:19072                    // 00000000439C: D8EC4A80 E0000002
	ds_read_b64 v[228:229], v2 offset:27392                    // 0000000043A4: D8EC6B00 E4000002
	v_mfma_f32_16x16x32_fp8_fp8 v[64:67], a[94:95], v[182:183], v[64:67]// 0000000043AC: D3F30040 0D036D5E
	s_waitcnt lgkmcnt(4)                                       // 0000000043B4: BF8CC47F
	v_and_b32_e32 v203, 0xffff0000, v201                       // 0000000043B8: 279792FF FFFF0000
	v_lshlrev_b32_e32 v202, 16, v201                           // 0000000043C0: 25959290
	v_and_b32_e32 v201, 0xffff0000, v200                       // 0000000043C4: 279390FF FFFF0000
	v_lshlrev_b32_e32 v200, 16, v200                           // 0000000043CC: 25919090
	v_and_b32_e32 v207, 0xffff0000, v205                       // 0000000043D0: 279F9AFF FFFF0000
	v_lshlrev_b32_e32 v206, 16, v205                           // 0000000043D8: 259D9A90
	v_and_b32_e32 v205, 0xffff0000, v204                       // 0000000043DC: 279B98FF FFFF0000
	v_lshlrev_b32_e32 v204, 16, v204                           // 0000000043E4: 25999890
	v_and_b32_e32 v211, 0xffff0000, v209                       // 0000000043E8: 27A7A2FF FFFF0000
	v_lshlrev_b32_e32 v210, 16, v209                           // 0000000043F0: 25A5A290
	v_and_b32_e32 v209, 0xffff0000, v208                       // 0000000043F4: 27A3A0FF FFFF0000
	v_lshlrev_b32_e32 v208, 16, v208                           // 0000000043FC: 25A1A090
	v_and_b32_e32 v215, 0xffff0000, v213                       // 000000004400: 27AFAAFF FFFF0000
	v_lshlrev_b32_e32 v214, 16, v213                           // 000000004408: 25ADAA90
	v_and_b32_e32 v213, 0xffff0000, v212                       // 00000000440C: 27ABA8FF FFFF0000
	v_lshlrev_b32_e32 v212, 16, v212                           // 000000004414: 25A9A890
	v_mul_f32_dpp v200, v15, v200 row_newbcast:0 row_mask:0xf bank_mask:0xf// 000000004418: 0B9190FA FF01500F
	v_mul_f32_dpp v201, v15, v201 row_newbcast:1 row_mask:0xf bank_mask:0xf// 000000004420: 0B9392FA FF01510F
	v_mul_f32_dpp v202, v15, v202 row_newbcast:2 row_mask:0xf bank_mask:0xf// 000000004428: 0B9594FA FF01520F
	v_mul_f32_dpp v203, v15, v203 row_newbcast:3 row_mask:0xf bank_mask:0xf// 000000004430: 0B9796FA FF01530F
	v_mul_f32_dpp v204, v15, v204 row_newbcast:0 row_mask:0xf bank_mask:0xf// 000000004438: 0B9998FA FF01500F
	v_mul_f32_dpp v205, v15, v205 row_newbcast:1 row_mask:0xf bank_mask:0xf// 000000004440: 0B9B9AFA FF01510F
	v_mul_f32_dpp v206, v15, v206 row_newbcast:2 row_mask:0xf bank_mask:0xf// 000000004448: 0B9D9CFA FF01520F
	v_mul_f32_dpp v207, v15, v207 row_newbcast:3 row_mask:0xf bank_mask:0xf// 000000004450: 0B9F9EFA FF01530F
	v_mul_f32_dpp v208, v15, v208 row_newbcast:4 row_mask:0xf bank_mask:0xf// 000000004458: 0BA1A0FA FF01540F
	v_mul_f32_dpp v209, v15, v209 row_newbcast:5 row_mask:0xf bank_mask:0xf// 000000004460: 0BA3A2FA FF01550F
	v_mul_f32_dpp v210, v15, v210 row_newbcast:6 row_mask:0xf bank_mask:0xf// 000000004468: 0BA5A4FA FF01560F
	v_mul_f32_dpp v211, v15, v211 row_newbcast:7 row_mask:0xf bank_mask:0xf// 000000004470: 0BA7A6FA FF01570F
	v_mul_f32_dpp v212, v15, v212 row_newbcast:4 row_mask:0xf bank_mask:0xf// 000000004478: 0BA9A8FA FF01540F
	v_mul_f32_dpp v213, v15, v213 row_newbcast:5 row_mask:0xf bank_mask:0xf// 000000004480: 0BABAAFA FF01550F
	v_mul_f32_dpp v214, v15, v214 row_newbcast:6 row_mask:0xf bank_mask:0xf// 000000004488: 0BADACFA FF01560F
	v_mul_f32_dpp v215, v15, v215 row_newbcast:7 row_mask:0xf bank_mask:0xf// 000000004490: 0BAFAEFA FF01570F
	v_mfma_f32_16x16x32_fp8_fp8 v[68:71], a[80:81], v[184:185], v[68:71]// 000000004498: D3F30044 0D137150
	v_mfma_f32_16x16x32_fp8_fp8 v[68:71], a[82:83], v[186:187], v[68:71]// 0000000044A0: D3F30044 0D137552
	buffer_load_dwordx4 a[8:11], v36, s[24:27], 0 offen offset:2048// 0000000044A8: E05C1800 80860824
	v_mfma_f32_16x16x32_fp8_fp8 v[68:71], a[84:85], v[188:189], v[68:71]// 0000000044B0: D3F30044 0D137954
	v_mfma_f32_16x16x32_fp8_fp8 v[68:71], a[86:87], v[190:191], v[68:71]// 0000000044B8: D3F30044 0D137D56
	v_mfma_f32_16x16x32_fp8_fp8 v[68:71], a[88:89], v[192:193], v[68:71]// 0000000044C0: D3F30044 0D138158
	v_mfma_f32_16x16x32_fp8_fp8 v[68:71], a[90:91], v[194:195], v[68:71]// 0000000044C8: D3F30044 0D13855A
	buffer_load_dwordx4 a[12:15], v36, s[24:27], 0 offen offset:3072// 0000000044D0: E05C1C00 80860C24
	v_mfma_f32_16x16x32_fp8_fp8 v[68:71], a[92:93], v[196:197], v[68:71]// 0000000044D8: D3F30044 0D13895C
	v_mfma_f32_16x16x32_fp8_fp8 v[68:71], a[94:95], v[198:199], v[68:71]// 0000000044E0: D3F30044 0D138D5E
	s_waitcnt lgkmcnt(0)                                       // 0000000044E8: BF8CC07F
	v_and_b32_e32 v219, 0xffff0000, v217                       // 0000000044EC: 27B7B2FF FFFF0000
	v_lshlrev_b32_e32 v218, 16, v217                           // 0000000044F4: 25B5B290
	v_and_b32_e32 v217, 0xffff0000, v216                       // 0000000044F8: 27B3B0FF FFFF0000
	v_lshlrev_b32_e32 v216, 16, v216                           // 000000004500: 25B1B090
	v_and_b32_e32 v223, 0xffff0000, v221                       // 000000004504: 27BFBAFF FFFF0000
	v_lshlrev_b32_e32 v222, 16, v221                           // 00000000450C: 25BDBA90
	v_and_b32_e32 v221, 0xffff0000, v220                       // 000000004510: 27BBB8FF FFFF0000
	v_lshlrev_b32_e32 v220, 16, v220                           // 000000004518: 25B9B890
	v_and_b32_e32 v227, 0xffff0000, v225                       // 00000000451C: 27C7C2FF FFFF0000
	v_lshlrev_b32_e32 v226, 16, v225                           // 000000004524: 25C5C290
	v_and_b32_e32 v225, 0xffff0000, v224                       // 000000004528: 27C3C0FF FFFF0000
	v_lshlrev_b32_e32 v224, 16, v224                           // 000000004530: 25C1C090
	v_and_b32_e32 v231, 0xffff0000, v229                       // 000000004534: 27CFCAFF FFFF0000
	v_lshlrev_b32_e32 v230, 16, v229                           // 00000000453C: 25CDCA90
	v_and_b32_e32 v229, 0xffff0000, v228                       // 000000004540: 27CBC8FF FFFF0000
	v_lshlrev_b32_e32 v228, 16, v228                           // 000000004548: 25C9C890
	v_mul_f32_dpp v216, v15, v216 row_newbcast:8 row_mask:0xf bank_mask:0xf// 00000000454C: 0BB1B0FA FF01580F
	v_mul_f32_dpp v217, v15, v217 row_newbcast:9 row_mask:0xf bank_mask:0xf// 000000004554: 0BB3B2FA FF01590F
	v_mul_f32_dpp v218, v15, v218 row_newbcast:10 row_mask:0xf bank_mask:0xf// 00000000455C: 0BB5B4FA FF015A0F
	v_mul_f32_dpp v219, v15, v219 row_newbcast:11 row_mask:0xf bank_mask:0xf// 000000004564: 0BB7B6FA FF015B0F
	v_mul_f32_dpp v220, v15, v220 row_newbcast:8 row_mask:0xf bank_mask:0xf// 00000000456C: 0BB9B8FA FF01580F
	v_mul_f32_dpp v221, v15, v221 row_newbcast:9 row_mask:0xf bank_mask:0xf// 000000004574: 0BBBBAFA FF01590F
	v_mul_f32_dpp v222, v15, v222 row_newbcast:10 row_mask:0xf bank_mask:0xf// 00000000457C: 0BBDBCFA FF015A0F
	v_mul_f32_dpp v223, v15, v223 row_newbcast:11 row_mask:0xf bank_mask:0xf// 000000004584: 0BBFBEFA FF015B0F
	v_mul_f32_dpp v224, v15, v224 row_newbcast:12 row_mask:0xf bank_mask:0xf// 00000000458C: 0BC1C0FA FF015C0F
	v_mul_f32_dpp v225, v15, v225 row_newbcast:13 row_mask:0xf bank_mask:0xf// 000000004594: 0BC3C2FA FF015D0F
	v_mul_f32_dpp v226, v15, v226 row_newbcast:14 row_mask:0xf bank_mask:0xf// 00000000459C: 0BC5C4FA FF015E0F
	v_mul_f32_dpp v227, v15, v227 row_newbcast:15 row_mask:0xf bank_mask:0xf// 0000000045A4: 0BC7C6FA FF015F0F
	v_mul_f32_dpp v228, v15, v228 row_newbcast:12 row_mask:0xf bank_mask:0xf// 0000000045AC: 0BC9C8FA FF015C0F
	v_mul_f32_dpp v229, v15, v229 row_newbcast:13 row_mask:0xf bank_mask:0xf// 0000000045B4: 0BCBCAFA FF015D0F
	v_mul_f32_dpp v230, v15, v230 row_newbcast:14 row_mask:0xf bank_mask:0xf// 0000000045BC: 0BCDCCFA FF015E0F
	v_mul_f32_dpp v231, v15, v231 row_newbcast:15 row_mask:0xf bank_mask:0xf// 0000000045C4: 0BCFCEFA FF015F0F
	v_mfma_f32_16x16x32_fp8_fp8 v[72:75], a[96:97], v[168:169], v[72:75]// 0000000045CC: D3F30048 0D235160
	v_mfma_f32_16x16x32_fp8_fp8 v[72:75], a[98:99], v[170:171], v[72:75]// 0000000045D4: D3F30048 0D235562
	buffer_load_dwordx4 a[16:19], v37, s[24:27], 0 offen       // 0000000045DC: E05C1000 80861025
	v_mov_b32_e32 v46, 0x358637bd                              // 0000000045E4: 7E5C02FF 358637BD
	v_mov_b32_e32 v47, 0x358637bd                              // 0000000045EC: 7E5E02FF 358637BD
	v_max3_f32 v46, |v200|, |v201|, v46                        // 0000000045F4: D1D3032E 04BB93C8
	v_max3_f32 v46, |v202|, |v203|, v46                        // 0000000045FC: D1D3032E 04BB97CA
	v_max3_f32 v47, |v204|, |v205|, v47                        // 000000004604: D1D3032F 04BF9BCC
	v_max3_f32 v47, |v206|, |v207|, v47                        // 00000000460C: D1D3032F 04BF9FCE
	v_max3_f32 v46, |v208|, |v209|, v46                        // 000000004614: D1D3032E 04BBA3D0
	v_max3_f32 v46, |v210|, |v211|, v46                        // 00000000461C: D1D3032E 04BBA7D2
	v_max3_f32 v47, |v212|, |v213|, v47                        // 000000004624: D1D3032F 04BFABD4
	v_max3_f32 v47, |v214|, |v215|, v47                        // 00000000462C: D1D3032F 04BFAFD6
	v_max3_f32 v46, |v216|, |v217|, v46                        // 000000004634: D1D3032E 04BBB3D8
	v_max3_f32 v46, |v218|, |v219|, v46                        // 00000000463C: D1D3032E 04BBB7DA
	v_max3_f32 v47, |v220|, |v221|, v47                        // 000000004644: D1D3032F 04BFBBDC
	v_max3_f32 v47, |v222|, |v223|, v47                        // 00000000464C: D1D3032F 04BFBFDE
	v_max3_f32 v46, |v224|, |v225|, v46                        // 000000004654: D1D3032E 04BBC3E0
	v_max3_f32 v46, |v226|, |v227|, v46                        // 00000000465C: D1D3032E 04BBC7E2
	v_max3_f32 v47, |v228|, |v229|, v47                        // 000000004664: D1D3032F 04BFCBE4
	v_max3_f32 v47, |v230|, |v231|, v47                        // 00000000466C: D1D3032F 04BFCFE6
	v_mfma_f32_16x16x32_fp8_fp8 v[72:75], a[100:101], v[172:173], v[72:75]// 000000004674: D3F30048 0D235964
	ds_write_b64 v3, v[46:47]                                  // 00000000467C: D89A0000 00002E03
	v_mfma_f32_16x16x32_fp8_fp8 v[72:75], a[102:103], v[174:175], v[72:75]// 000000004684: D3F30048 0D235D66
	v_mfma_f32_16x16x32_fp8_fp8 v[72:75], a[104:105], v[176:177], v[72:75]// 00000000468C: D3F30048 0D236168
	v_mfma_f32_16x16x32_fp8_fp8 v[72:75], a[106:107], v[178:179], v[72:75]// 000000004694: D3F30048 0D23656A
	buffer_load_dwordx4 a[20:23], v37, s[24:27], 0 offen offset:1024// 00000000469C: E05C1400 80861425
	s_waitcnt lgkmcnt(0)                                       // 0000000046A4: BF8CC07F
	s_barrier                                                  // 0000000046A8: BF8A0000
	v_mfma_f32_16x16x32_fp8_fp8 v[72:75], a[108:109], v[180:181], v[72:75]// 0000000046AC: D3F30048 0D23696C
	ds_read_b64 v[46:47], v4                                   // 0000000046B4: D8EC0000 2E000004
	ds_read_b64 v[48:49], v4 offset:128                        // 0000000046BC: D8EC0080 30000004
	v_mfma_f32_16x16x32_fp8_fp8 v[72:75], a[110:111], v[182:183], v[72:75]// 0000000046C4: D3F30048 0D236D6E
	v_mfma_f32_16x16x32_fp8_fp8 v[76:79], a[96:97], v[184:185], v[76:79]// 0000000046CC: D3F3004C 0D337160
	ds_read_b64 v[50:51], v4 offset:256                        // 0000000046D4: D8EC0100 32000004
	ds_read_b64 v[52:53], v4 offset:384                        // 0000000046DC: D8EC0180 34000004
	v_mfma_f32_16x16x32_fp8_fp8 v[76:79], a[98:99], v[186:187], v[76:79]// 0000000046E4: D3F3004C 0D337562
	buffer_load_dwordx4 a[24:27], v37, s[24:27], 0 offen offset:2048// 0000000046EC: E05C1800 80861825
	v_mfma_f32_16x16x32_fp8_fp8 v[76:79], a[100:101], v[188:189], v[76:79]// 0000000046F4: D3F3004C 0D337964
	ds_read_b64 v[54:55], v4 offset:512                        // 0000000046FC: D8EC0200 36000004
	ds_read_b64 v[56:57], v4 offset:640                        // 000000004704: D8EC0280 38000004
	v_mfma_f32_16x16x32_fp8_fp8 v[76:79], a[102:103], v[190:191], v[76:79]// 00000000470C: D3F3004C 0D337D66
	v_mfma_f32_16x16x32_fp8_fp8 v[76:79], a[104:105], v[192:193], v[76:79]// 000000004714: D3F3004C 0D338168
	ds_read_b64 v[58:59], v4 offset:768                        // 00000000471C: D8EC0300 3A000004
	ds_read_b64 v[60:61], v4 offset:896                        // 000000004724: D8EC0380 3C000004
	v_mfma_f32_16x16x32_fp8_fp8 v[76:79], a[106:107], v[194:195], v[76:79]// 00000000472C: D3F3004C 0D33856A
	buffer_load_dwordx4 a[28:31], v37, s[24:27], 0 offen offset:3072// 000000004734: E05C1C00 80861C25
	v_mfma_f32_16x16x32_fp8_fp8 v[76:79], a[108:109], v[196:197], v[76:79]// 00000000473C: D3F3004C 0D33896C
	v_mfma_f32_16x16x32_fp8_fp8 v[76:79], a[110:111], v[198:199], v[76:79]// 000000004744: D3F3004C 0D338D6E
	s_waitcnt vmcnt(16)                                        // 00000000474C: BF8C4F70
	v_mfma_f32_16x16x32_fp8_fp8 v[80:83], a[112:113], v[168:169], v[80:83]// 000000004750: D3F30050 0D435170
	v_mfma_f32_16x16x32_fp8_fp8 v[80:83], a[114:115], v[170:171], v[80:83]// 000000004758: D3F30050 0D435572
	buffer_load_dwordx4 a[32:35], v38, s[24:27], 0 offen       // 000000004760: E05C1000 80862026
	s_waitcnt lgkmcnt(0)                                       // 000000004768: BF8CC07F
	v_mov_b32_e32 v22, 0x358637bd                              // 00000000476C: 7E2C02FF 358637BD
	v_mov_b32_e32 v23, 0x358637bd                              // 000000004774: 7E2E02FF 358637BD
	v_max3_f32 v22, |v46|, |v48|, v22                          // 00000000477C: D1D30316 045A612E
	v_max3_f32 v23, |v47|, |v49|, v23                          // 000000004784: D1D30317 045E632F
	v_max3_f32 v22, |v50|, |v52|, v22                          // 00000000478C: D1D30316 045A6932
	v_max3_f32 v23, |v51|, |v53|, v23                          // 000000004794: D1D30317 045E6B33
	v_max3_f32 v22, |v54|, |v56|, v22                          // 00000000479C: D1D30316 045A7136
	v_max3_f32 v23, |v55|, |v57|, v23                          // 0000000047A4: D1D30317 045E7337
	v_max3_f32 v22, |v58|, |v60|, v22                          // 0000000047AC: D1D30316 045A793A
	v_max3_f32 v23, |v59|, |v61|, v23                          // 0000000047B4: D1D30317 045E7B3B
	v_mfma_f32_16x16x32_fp8_fp8 v[80:83], a[116:117], v[172:173], v[80:83]// 0000000047BC: D3F30050 0D435974
	ds_read_b64 v[46:47], v4 offset:1024                       // 0000000047C4: D8EC0400 2E000004
	ds_read_b64 v[48:49], v4 offset:1152                       // 0000000047CC: D8EC0480 30000004
	v_mfma_f32_16x16x32_fp8_fp8 v[80:83], a[118:119], v[174:175], v[80:83]// 0000000047D4: D3F30050 0D435D76
	v_mfma_f32_16x16x32_fp8_fp8 v[80:83], a[120:121], v[176:177], v[80:83]// 0000000047DC: D3F30050 0D436178
	ds_read_b64 v[50:51], v4 offset:1280                       // 0000000047E4: D8EC0500 32000004
	ds_read_b64 v[52:53], v4 offset:1408                       // 0000000047EC: D8EC0580 34000004
	v_mfma_f32_16x16x32_fp8_fp8 v[80:83], a[122:123], v[178:179], v[80:83]// 0000000047F4: D3F30050 0D43657A
	buffer_load_dwordx4 a[36:39], v38, s[24:27], 0 offen offset:1024// 0000000047FC: E05C1400 80862426
	v_mfma_f32_16x16x32_fp8_fp8 v[80:83], a[124:125], v[180:181], v[80:83]// 000000004804: D3F30050 0D43697C
	ds_read_b64 v[54:55], v4 offset:1536                       // 00000000480C: D8EC0600 36000004
	ds_read_b64 v[56:57], v4 offset:1664                       // 000000004814: D8EC0680 38000004
	v_mfma_f32_16x16x32_fp8_fp8 v[80:83], a[126:127], v[182:183], v[80:83]// 00000000481C: D3F30050 0D436D7E
	v_mfma_f32_16x16x32_fp8_fp8 v[84:87], a[112:113], v[184:185], v[84:87]// 000000004824: D3F30054 0D537170
	ds_read_b64 v[58:59], v4 offset:1792                       // 00000000482C: D8EC0700 3A000004
	ds_read_b64 v[60:61], v4 offset:1920                       // 000000004834: D8EC0780 3C000004
	v_mfma_f32_16x16x32_fp8_fp8 v[84:87], a[114:115], v[186:187], v[84:87]// 00000000483C: D3F30054 0D537572
	buffer_load_dwordx4 a[40:43], v38, s[24:27], 0 offen offset:2048// 000000004844: E05C1800 80862826
	v_mfma_f32_16x16x32_fp8_fp8 v[84:87], a[116:117], v[188:189], v[84:87]// 00000000484C: D3F30054 0D537974
	v_mfma_f32_16x16x32_fp8_fp8 v[84:87], a[118:119], v[190:191], v[84:87]// 000000004854: D3F30054 0D537D76
	v_mfma_f32_16x16x32_fp8_fp8 v[84:87], a[120:121], v[192:193], v[84:87]// 00000000485C: D3F30054 0D538178
	v_mfma_f32_16x16x32_fp8_fp8 v[84:87], a[122:123], v[194:195], v[84:87]// 000000004864: D3F30054 0D53857A
	buffer_load_dwordx4 a[44:47], v38, s[24:27], 0 offen offset:3072// 00000000486C: E05C1C00 80862C26
	s_waitcnt lgkmcnt(0)                                       // 000000004874: BF8CC07F
	v_max3_f32 v22, |v46|, |v48|, v22                          // 000000004878: D1D30316 045A612E
	v_max3_f32 v23, |v47|, |v49|, v23                          // 000000004880: D1D30317 045E632F
	v_max3_f32 v22, |v50|, |v52|, v22                          // 000000004888: D1D30316 045A6932
	v_max3_f32 v23, |v51|, |v53|, v23                          // 000000004890: D1D30317 045E6B33
	v_max3_f32 v22, |v54|, |v56|, v22                          // 000000004898: D1D30316 045A7136
	v_max3_f32 v23, |v55|, |v57|, v23                          // 0000000048A0: D1D30317 045E7337
	v_max3_f32 v22, |v58|, |v60|, v22                          // 0000000048A8: D1D30316 045A793A
	v_max3_f32 v23, |v59|, |v61|, v23                          // 0000000048B0: D1D30317 045E7B3B
	v_mov_b32_e32 v42, 0x43700000                              // 0000000048B8: 7E5402FF 43700000
	v_rcp_f32_e32 v22, v22                                     // 0000000048C0: 7E2C4516
	v_rcp_f32_e32 v23, v23                                     // 0000000048C4: 7E2E4517
	s_nop 1                                                    // 0000000048C8: BF800001
	v_mul_f32_e32 v22, v42, v22                                // 0000000048CC: 0A2C2D2A
	v_mul_f32_e32 v23, v42, v23                                // 0000000048D0: 0A2E2F2A
	v_rcp_f32_e32 v26, v22                                     // 0000000048D4: 7E344516
	v_rcp_f32_e32 v27, v23                                     // 0000000048D8: 7E364517
	v_mov_b32_e32 v42, v22                                     // 0000000048DC: 7E540316
	v_mov_b32_e32 v43, v22                                     // 0000000048E0: 7E560316
	v_mov_b32_e32 v44, v23                                     // 0000000048E4: 7E580317
	v_mov_b32_e32 v45, v23                                     // 0000000048E8: 7E5A0317
	v_pk_mul_f32 v[200:201], v[42:43], v[200:201]              // 0000000048EC: D3B140C8 1803912A
	v_pk_mul_f32 v[202:203], v[42:43], v[202:203]              // 0000000048F4: D3B140CA 1803952A
	v_cvt_pk_fp8_f32 v200, v200, v201                          // 0000000048FC: D2A200C8 000393C8
	v_cvt_pk_fp8_f32 v200, v202, v203 op_sel:[0,0,1]           // 000000004904: D2A240C8 000397CA
	v_pk_mul_f32 v[204:205], v[44:45], v[204:205]              // 00000000490C: D3B140CC 1803992C
	v_pk_mul_f32 v[206:207], v[44:45], v[206:207]              // 000000004914: D3B140CE 18039D2C
	v_cvt_pk_fp8_f32 v201, v204, v205                          // 00000000491C: D2A200C9 00039BCC
	v_cvt_pk_fp8_f32 v201, v206, v207 op_sel:[0,0,1]           // 000000004924: D2A240C9 00039FCE
	v_pk_mul_f32 v[208:209], v[42:43], v[208:209]              // 00000000492C: D3B140D0 1803A12A
	v_pk_mul_f32 v[210:211], v[42:43], v[210:211]              // 000000004934: D3B140D2 1803A52A
	v_cvt_pk_fp8_f32 v202, v208, v209                          // 00000000493C: D2A200CA 0003A3D0
	v_cvt_pk_fp8_f32 v202, v210, v211 op_sel:[0,0,1]           // 000000004944: D2A240CA 0003A7D2
	v_pk_mul_f32 v[212:213], v[44:45], v[212:213]              // 00000000494C: D3B140D4 1803A92C
	v_pk_mul_f32 v[214:215], v[44:45], v[214:215]              // 000000004954: D3B140D6 1803AD2C
	v_cvt_pk_fp8_f32 v203, v212, v213                          // 00000000495C: D2A200CB 0003ABD4
	v_cvt_pk_fp8_f32 v203, v214, v215 op_sel:[0,0,1]           // 000000004964: D2A240CB 0003AFD6
	v_pk_mul_f32 v[216:217], v[42:43], v[216:217]              // 00000000496C: D3B140D8 1803B12A
	v_pk_mul_f32 v[218:219], v[42:43], v[218:219]              // 000000004974: D3B140DA 1803B52A
	v_cvt_pk_fp8_f32 v204, v216, v217                          // 00000000497C: D2A200CC 0003B3D8
	v_cvt_pk_fp8_f32 v204, v218, v219 op_sel:[0,0,1]           // 000000004984: D2A240CC 0003B7DA
	v_pk_mul_f32 v[220:221], v[44:45], v[220:221]              // 00000000498C: D3B140DC 1803B92C
	v_pk_mul_f32 v[222:223], v[44:45], v[222:223]              // 000000004994: D3B140DE 1803BD2C
	v_cvt_pk_fp8_f32 v205, v220, v221                          // 00000000499C: D2A200CD 0003BBDC
	v_cvt_pk_fp8_f32 v205, v222, v223 op_sel:[0,0,1]           // 0000000049A4: D2A240CD 0003BFDE
	v_pk_mul_f32 v[224:225], v[42:43], v[224:225]              // 0000000049AC: D3B140E0 1803C12A
	v_pk_mul_f32 v[226:227], v[42:43], v[226:227]              // 0000000049B4: D3B140E2 1803C52A
	v_cvt_pk_fp8_f32 v206, v224, v225                          // 0000000049BC: D2A200CE 0003C3E0
	v_cvt_pk_fp8_f32 v206, v226, v227 op_sel:[0,0,1]           // 0000000049C4: D2A240CE 0003C7E2
	v_pk_mul_f32 v[228:229], v[44:45], v[228:229]              // 0000000049CC: D3B140E4 1803C92C
	v_pk_mul_f32 v[230:231], v[44:45], v[230:231]              // 0000000049D4: D3B140E6 1803CD2C
	v_cvt_pk_fp8_f32 v207, v228, v229                          // 0000000049DC: D2A200CF 0003CBE4
	v_cvt_pk_fp8_f32 v207, v230, v231 op_sel:[0,0,1]           // 0000000049E4: D2A240CF 0003CFE6
	v_mfma_f32_16x16x32_fp8_fp8 v[84:87], a[124:125], v[196:197], v[84:87]// 0000000049EC: D3F30054 0D53897C
	ds_write_b32 v12, v200 offset:2048                         // 0000000049F4: D81A0800 0000C80C
	ds_write_b32 v12, v201 offset:6144                         // 0000000049FC: D81A1800 0000C90C
	v_mfma_f32_16x16x32_fp8_fp8 v[84:87], a[126:127], v[198:199], v[84:87]// 000000004A04: D3F30054 0D538D7E
	s_waitcnt vmcnt(16)                                        // 000000004A0C: BF8C4F70
	v_mfma_f32_16x16x32_fp8_fp8 v[88:91], a[128:129], v[168:169], v[88:91]// 000000004A10: D3F30058 0D635180
	ds_write_b32 v12, v202 offset:3072                         // 000000004A18: D81A0C00 0000CA0C
	ds_write_b32 v12, v203 offset:7168                         // 000000004A20: D81A1C00 0000CB0C
	v_mfma_f32_16x16x32_fp8_fp8 v[88:91], a[130:131], v[170:171], v[88:91]// 000000004A28: D3F30058 0D635582
	buffer_load_dwordx4 a[48:51], v39, s[24:27], 0 offen       // 000000004A30: E05C1000 80863027
	v_mfma_f32_16x16x32_fp8_fp8 v[88:91], a[132:133], v[172:173], v[88:91]// 000000004A38: D3F30058 0D635984
	ds_write_b32 v12, v204 offset:4096                         // 000000004A40: D81A1000 0000CC0C
	ds_write_b32 v12, v205 offset:8192                         // 000000004A48: D81A2000 0000CD0C
	v_mfma_f32_16x16x32_fp8_fp8 v[88:91], a[134:135], v[174:175], v[88:91]// 000000004A50: D3F30058 0D635D86
	v_mfma_f32_16x16x32_fp8_fp8 v[88:91], a[136:137], v[176:177], v[88:91]// 000000004A58: D3F30058 0D636188
	ds_write_b32 v12, v206 offset:5120                         // 000000004A60: D81A1400 0000CE0C
	ds_write_b32 v12, v207 offset:9216                         // 000000004A68: D81A2400 0000CF0C
	v_mfma_f32_16x16x32_fp8_fp8 v[88:91], a[138:139], v[178:179], v[88:91]// 000000004A70: D3F30058 0D63658A
	buffer_load_dwordx4 a[52:55], v39, s[24:27], 0 offen offset:1024// 000000004A78: E05C1400 80863427
	v_mfma_f32_16x16x32_fp8_fp8 v[88:91], a[140:141], v[180:181], v[88:91]// 000000004A80: D3F30058 0D63698C
	v_mfma_f32_16x16x32_fp8_fp8 v[88:91], a[142:143], v[182:183], v[88:91]// 000000004A88: D3F30058 0D636D8E
	v_mfma_f32_16x16x32_fp8_fp8 v[92:95], a[128:129], v[184:185], v[92:95]// 000000004A90: D3F3005C 0D737180
	v_mfma_f32_16x16x32_fp8_fp8 v[92:95], a[130:131], v[186:187], v[92:95]// 000000004A98: D3F3005C 0D737582
	buffer_load_dwordx4 a[56:59], v39, s[24:27], 0 offen offset:2048// 000000004AA0: E05C1800 80863827
	v_mfma_f32_16x16x32_fp8_fp8 v[92:95], a[132:133], v[188:189], v[92:95]// 000000004AA8: D3F3005C 0D737984
	v_mfma_f32_16x16x32_fp8_fp8 v[92:95], a[134:135], v[190:191], v[92:95]// 000000004AB0: D3F3005C 0D737D86
	s_waitcnt lgkmcnt(0)                                       // 000000004AB8: BF8CC07F
	s_barrier                                                  // 000000004ABC: BF8A0000
	v_mfma_f32_16x16x32_fp8_fp8 v[92:95], a[136:137], v[192:193], v[92:95]// 000000004AC0: D3F3005C 0D738188
	ds_read_b64 v[200:201], v13 offset:2048                    // 000000004AC8: D8EC0800 C800000D
	ds_read_b64 v[202:203], v13 offset:2176                    // 000000004AD0: D8EC0880 CA00000D
	v_mfma_f32_16x16x32_fp8_fp8 v[92:95], a[138:139], v[194:195], v[92:95]// 000000004AD8: D3F3005C 0D73858A
	buffer_load_dwordx4 a[60:63], v39, s[24:27], 0 offen offset:3072// 000000004AE0: E05C1C00 80863C27
	v_mfma_f32_16x16x32_fp8_fp8 v[92:95], a[140:141], v[196:197], v[92:95]// 000000004AE8: D3F3005C 0D73898C
	ds_read_b64 v[204:205], v13 offset:3072                    // 000000004AF0: D8EC0C00 CC00000D
	ds_read_b64 v[206:207], v13 offset:3200                    // 000000004AF8: D8EC0C80 CE00000D
	v_mfma_f32_16x16x32_fp8_fp8 v[92:95], a[142:143], v[198:199], v[92:95]// 000000004B00: D3F3005C 0D738D8E
	s_waitcnt vmcnt(16)                                        // 000000004B08: BF8C4F70
	v_mfma_f32_16x16x32_fp8_fp8 v[96:99], a[144:145], v[168:169], v[96:99]// 000000004B0C: D3F30060 0D835190
	ds_read_b64 v[208:209], v13 offset:4096                    // 000000004B14: D8EC1000 D000000D
	ds_read_b64 v[210:211], v13 offset:4224                    // 000000004B1C: D8EC1080 D200000D
	v_mfma_f32_16x16x32_fp8_fp8 v[96:99], a[146:147], v[170:171], v[96:99]// 000000004B24: D3F30060 0D835592
	buffer_load_dwordx4 a[64:67], v40, s[24:27], 0 offen       // 000000004B2C: E05C1000 80864028
	v_mfma_f32_16x16x32_fp8_fp8 v[96:99], a[148:149], v[172:173], v[96:99]// 000000004B34: D3F30060 0D835994
	ds_read_b64 v[212:213], v13 offset:5120                    // 000000004B3C: D8EC1400 D400000D
	ds_read_b64 v[214:215], v13 offset:5248                    // 000000004B44: D8EC1480 D600000D
	v_mfma_f32_16x16x32_fp8_fp8 v[96:99], a[150:151], v[174:175], v[96:99]// 000000004B4C: D3F30060 0D835D96
	v_mfma_f32_16x16x32_fp8_fp8 v[96:99], a[152:153], v[176:177], v[96:99]// 000000004B54: D3F30060 0D836198
	ds_read_b64 v[216:217], v13 offset:6144                    // 000000004B5C: D8EC1800 D800000D
	ds_read_b64 v[218:219], v13 offset:6272                    // 000000004B64: D8EC1880 DA00000D
	v_mfma_f32_16x16x32_fp8_fp8 v[96:99], a[154:155], v[178:179], v[96:99]// 000000004B6C: D3F30060 0D83659A
	buffer_load_dwordx4 a[68:71], v40, s[24:27], 0 offen offset:1024// 000000004B74: E05C1400 80864428
	v_mfma_f32_16x16x32_fp8_fp8 v[96:99], a[156:157], v[180:181], v[96:99]// 000000004B7C: D3F30060 0D83699C
	ds_read_b64 v[220:221], v13 offset:7168                    // 000000004B84: D8EC1C00 DC00000D
	ds_read_b64 v[222:223], v13 offset:7296                    // 000000004B8C: D8EC1C80 DE00000D
	v_mfma_f32_16x16x32_fp8_fp8 v[96:99], a[158:159], v[182:183], v[96:99]// 000000004B94: D3F30060 0D836D9E
	v_mfma_f32_16x16x32_fp8_fp8 v[100:103], a[144:145], v[184:185], v[100:103]// 000000004B9C: D3F30064 0D937190
	ds_read_b64 v[224:225], v13 offset:8192                    // 000000004BA4: D8EC2000 E000000D
	ds_read_b64 v[226:227], v13 offset:8320                    // 000000004BAC: D8EC2080 E200000D
	v_mfma_f32_16x16x32_fp8_fp8 v[100:103], a[146:147], v[186:187], v[100:103]// 000000004BB4: D3F30064 0D937592
	buffer_load_dwordx4 a[72:75], v40, s[24:27], 0 offen offset:2048// 000000004BBC: E05C1800 80864828
	v_mfma_f32_16x16x32_fp8_fp8 v[100:103], a[148:149], v[188:189], v[100:103]// 000000004BC4: D3F30064 0D937994
	ds_read_b64 v[228:229], v13 offset:9216                    // 000000004BCC: D8EC2400 E400000D
	ds_read_b64 v[230:231], v13 offset:9344                    // 000000004BD4: D8EC2480 E600000D
	v_mfma_f32_16x16x32_fp8_fp8 v[100:103], a[150:151], v[190:191], v[100:103]// 000000004BDC: D3F30064 0D937D96
	v_mfma_f32_16x16x32_fp8_fp8 v[100:103], a[152:153], v[192:193], v[100:103]// 000000004BE4: D3F30064 0D938198
	v_mfma_f32_16x16x32_fp8_fp8 v[100:103], a[154:155], v[194:195], v[100:103]// 000000004BEC: D3F30064 0D93859A
	buffer_load_dwordx4 a[76:79], v40, s[24:27], 0 offen offset:3072// 000000004BF4: E05C1C00 80864C28
	v_mfma_f32_16x16x32_fp8_fp8 v[100:103], a[156:157], v[196:197], v[100:103]// 000000004BFC: D3F30064 0D93899C
	v_mfma_f32_16x16x32_fp8_fp8 v[100:103], a[158:159], v[198:199], v[100:103]// 000000004C04: D3F30064 0D938D9E
	s_add_u32 s60, 0x200, s80                                  // 000000004C0C: 803C50FF 00000200
	s_cmp_lt_u32 s60, s81                                      // 000000004C14: BF0A513C
	s_cselect_b32 s57, s57, 0                                  // 000000004C18: 85398039
	s_cselect_b32 s91, s91, 0                                  // 000000004C1C: 855B805B
	s_add_u32 s60, 0x200, s80                                  // 000000004C20: 803C50FF 00000200
	s_cmp_lt_u32 s60, s81                                      // 000000004C28: BF0A513C
	s_cselect_b32 s58, s58, 0                                  // 000000004C2C: 853A803A
	s_add_u32 s20, s57, s20                                    // 000000004C30: 80141439
	s_addc_u32 s21, 0, s21                                     // 000000004C34: 82151580
	s_add_u32 s28, s91, s28                                    // 000000004C38: 801C1C5B
	s_addc_u32 s29, 0, s29                                     // 000000004C3C: 821D1D80
	s_add_u32 s24, s58, s24                                    // 000000004C40: 8018183A
	s_addc_u32 s25, 0, s25                                     // 000000004C44: 82191980
	s_add_u32 s92, s90, s92                                    // 000000004C48: 805C5C5A
	s_addc_u32 s93, 0, s93                                     // 000000004C4C: 825D5D80
	v_mov_b32_e32 v42, v24                                     // 000000004C50: 7E540318
	v_mov_b32_e32 v44, v25                                     // 000000004C54: 7E580319
	v_mov_b32_e32 v43, v42                                     // 000000004C58: 7E56032A
	v_mov_b32_e32 v45, v44                                     // 000000004C5C: 7E5A032C
	v_pk_mul_f32 v[64:65], v[42:43], v[64:65]                  // 000000004C60: D3B14040 1802812A
	v_pk_mul_f32 v[66:67], v[42:43], v[66:67]                  // 000000004C68: D3B14042 1802852A
	v_pk_mul_f32 v[68:69], v[44:45], v[68:69]                  // 000000004C70: D3B14044 1802892C
	v_pk_mul_f32 v[70:71], v[44:45], v[70:71]                  // 000000004C78: D3B14046 18028D2C
	v_pk_mul_f32 v[72:73], v[42:43], v[72:73]                  // 000000004C80: D3B14048 1802912A
	v_pk_mul_f32 v[74:75], v[42:43], v[74:75]                  // 000000004C88: D3B1404A 1802952A
	v_pk_mul_f32 v[76:77], v[44:45], v[76:77]                  // 000000004C90: D3B1404C 1802992C
	v_pk_mul_f32 v[78:79], v[44:45], v[78:79]                  // 000000004C98: D3B1404E 18029D2C
	v_pk_mul_f32 v[80:81], v[42:43], v[80:81]                  // 000000004CA0: D3B14050 1802A12A
	v_pk_mul_f32 v[82:83], v[42:43], v[82:83]                  // 000000004CA8: D3B14052 1802A52A
	v_pk_mul_f32 v[84:85], v[44:45], v[84:85]                  // 000000004CB0: D3B14054 1802A92C
	v_pk_mul_f32 v[86:87], v[44:45], v[86:87]                  // 000000004CB8: D3B14056 1802AD2C
	v_pk_mul_f32 v[88:89], v[42:43], v[88:89]                  // 000000004CC0: D3B14058 1802B12A
	v_pk_mul_f32 v[90:91], v[42:43], v[90:91]                  // 000000004CC8: D3B1405A 1802B52A
	v_pk_mul_f32 v[92:93], v[44:45], v[92:93]                  // 000000004CD0: D3B1405C 1802B92C
	v_pk_mul_f32 v[94:95], v[44:45], v[94:95]                  // 000000004CD8: D3B1405E 1802BD2C
	v_pk_mul_f32 v[96:97], v[42:43], v[96:97]                  // 000000004CE0: D3B14060 1802C12A
	v_pk_mul_f32 v[98:99], v[42:43], v[98:99]                  // 000000004CE8: D3B14062 1802C52A
	v_pk_mul_f32 v[100:101], v[44:45], v[100:101]              // 000000004CF0: D3B14064 1802C92C
	v_pk_mul_f32 v[102:103], v[44:45], v[102:103]              // 000000004CF8: D3B14066 1802CD2C
	s_addk_i32 s80, 0x100                                      // 000000004D00: B7500100
	s_cmp_lt_i32 s80, s81                                      // 000000004D04: BF045150
	s_cbranch_scc0 label_0BC2                                  // 000000004D08: BF8403FF
	v_rcp_f32_e32 v42, v26                                     // 000000004D0C: 7E54451A
	v_rcp_f32_e32 v44, v27                                     // 000000004D10: 7E58451B
	v_mov_b32_e32 v43, v42                                     // 000000004D14: 7E56032A
	v_mov_b32_e32 v45, v44                                     // 000000004D18: 7E5A032C
	v_pk_mul_f32 v[128:129], v[42:43], v[128:129]              // 000000004D1C: D3B14080 1803012A
	v_pk_mul_f32 v[130:131], v[42:43], v[130:131]              // 000000004D24: D3B14082 1803052A
	v_pk_mul_f32 v[132:133], v[44:45], v[132:133]              // 000000004D2C: D3B14084 1803092C
	v_pk_mul_f32 v[134:135], v[44:45], v[134:135]              // 000000004D34: D3B14086 18030D2C
	v_pk_mul_f32 v[136:137], v[42:43], v[136:137]              // 000000004D3C: D3B14088 1803112A
	v_pk_mul_f32 v[138:139], v[42:43], v[138:139]              // 000000004D44: D3B1408A 1803152A
	v_pk_mul_f32 v[140:141], v[44:45], v[140:141]              // 000000004D4C: D3B1408C 1803192C
	v_pk_mul_f32 v[142:143], v[44:45], v[142:143]              // 000000004D54: D3B1408E 18031D2C
	v_pk_mul_f32 v[144:145], v[42:43], v[144:145]              // 000000004D5C: D3B14090 1803212A
	v_pk_mul_f32 v[146:147], v[42:43], v[146:147]              // 000000004D64: D3B14092 1803252A
	v_pk_mul_f32 v[148:149], v[44:45], v[148:149]              // 000000004D6C: D3B14094 1803292C
	v_pk_mul_f32 v[150:151], v[44:45], v[150:151]              // 000000004D74: D3B14096 18032D2C
	v_pk_mul_f32 v[152:153], v[42:43], v[152:153]              // 000000004D7C: D3B14098 1803312A
	v_pk_mul_f32 v[154:155], v[42:43], v[154:155]              // 000000004D84: D3B1409A 1803352A
	v_pk_mul_f32 v[156:157], v[44:45], v[156:157]              // 000000004D8C: D3B1409C 1803392C
	v_pk_mul_f32 v[158:159], v[44:45], v[158:159]              // 000000004D94: D3B1409E 18033D2C
	v_pk_mul_f32 v[160:161], v[42:43], v[160:161]              // 000000004D9C: D3B140A0 1803412A
	v_pk_mul_f32 v[162:163], v[42:43], v[162:163]              // 000000004DA4: D3B140A2 1803452A
	v_pk_mul_f32 v[164:165], v[44:45], v[164:165]              // 000000004DAC: D3B140A4 1803492C
	v_pk_mul_f32 v[166:167], v[44:45], v[166:167]              // 000000004DB4: D3B140A6 18034D2C
	s_waitcnt vmcnt(12) lgkmcnt(0)                             // 000000004DBC: BF8C007C
	s_barrier                                                  // 000000004DC0: BF8A0000
	v_mfma_f32_16x16x32_fp8_fp8 v[128:131], a[0:1], v[200:201], v[128:131]// 000000004DC4: D3F30080 0E039100
	v_mfma_f32_16x16x32_fp8_fp8 v[128:131], a[2:3], v[202:203], v[128:131]// 000000004DCC: D3F30080 0E039502
	buffer_load_dwordx4 a[80:83], v36, s[92:95], 0 offen       // 000000004DD4: E05C1000 80975024
	v_mfma_f32_16x16x32_fp8_fp8 v[128:131], a[4:5], v[204:205], v[128:131]// 000000004DDC: D3F30080 0E039904
	v_mfma_f32_16x16x32_fp8_fp8 v[128:131], a[6:7], v[206:207], v[128:131]// 000000004DE4: D3F30080 0E039D06
	buffer_load_dword v28, s[20:23], 0 offen lds               // 000000004DEC: E0511000 8005001C
	buffer_load_dword v28, s[20:23], 0 offen offset:256 lds    // 000000004DF4: E0511100 8005001C
	s_add_u32 m0, 0x820, s50                                   // 000000004DFC: 807C32FF 00000820
	v_mfma_f32_16x16x32_fp8_fp8 v[128:131], a[8:9], v[208:209], v[128:131]// 000000004E04: D3F30080 0E03A108
	v_mfma_f32_16x16x32_fp8_fp8 v[128:131], a[10:11], v[210:211], v[128:131]// 000000004E0C: D3F30080 0E03A50A
	buffer_load_dwordx4 a[84:87], v36, s[92:95], 0 offen offset:1024// 000000004E14: E05C1400 80975424
	v_mfma_f32_16x16x32_fp8_fp8 v[128:131], a[12:13], v[212:213], v[128:131]// 000000004E1C: D3F30080 0E03A90C
	v_mfma_f32_16x16x32_fp8_fp8 v[128:131], a[14:15], v[214:215], v[128:131]// 000000004E24: D3F30080 0E03AD0E
	buffer_load_dword v29, s[20:23], 0 offen lds               // 000000004E2C: E0511000 8005001D
	buffer_load_dword v29, s[20:23], 0 offen offset:256 lds    // 000000004E34: E0511100 8005001D
	s_add_u32 m0, 0x1040, s50                                  // 000000004E3C: 807C32FF 00001040
	v_mfma_f32_16x16x32_fp8_fp8 v[132:135], a[0:1], v[216:217], v[132:135]// 000000004E44: D3F30084 0E13B100
	v_mfma_f32_16x16x32_fp8_fp8 v[132:135], a[2:3], v[218:219], v[132:135]// 000000004E4C: D3F30084 0E13B502
	buffer_load_dwordx4 a[88:91], v36, s[92:95], 0 offen offset:2048// 000000004E54: E05C1800 80975824
	v_mfma_f32_16x16x32_fp8_fp8 v[132:135], a[4:5], v[220:221], v[132:135]// 000000004E5C: D3F30084 0E13B904
	v_mfma_f32_16x16x32_fp8_fp8 v[132:135], a[6:7], v[222:223], v[132:135]// 000000004E64: D3F30084 0E13BD06
	buffer_load_dword v30, s[20:23], 0 offen lds               // 000000004E6C: E0511000 8005001E
	buffer_load_dword v30, s[20:23], 0 offen offset:256 lds    // 000000004E74: E0511100 8005001E
	s_add_u32 m0, 0x1860, s50                                  // 000000004E7C: 807C32FF 00001860
	v_mfma_f32_16x16x32_fp8_fp8 v[132:135], a[8:9], v[224:225], v[132:135]// 000000004E84: D3F30084 0E13C108
	v_mfma_f32_16x16x32_fp8_fp8 v[132:135], a[10:11], v[226:227], v[132:135]// 000000004E8C: D3F30084 0E13C50A
	buffer_load_dwordx4 a[92:95], v36, s[92:95], 0 offen offset:3072// 000000004E94: E05C1C00 80975C24
	v_mfma_f32_16x16x32_fp8_fp8 v[132:135], a[12:13], v[228:229], v[132:135]// 000000004E9C: D3F30084 0E13C90C
	v_mfma_f32_16x16x32_fp8_fp8 v[132:135], a[14:15], v[230:231], v[132:135]// 000000004EA4: D3F30084 0E13CD0E
	buffer_load_dword v31, s[20:23], 0 offen lds               // 000000004EAC: E0511000 8005001F
	buffer_load_dword v31, s[20:23], 0 offen offset:256 lds    // 000000004EB4: E0511100 8005001F
	s_add_u32 m0, 0x2080, s50                                  // 000000004EBC: 807C32FF 00002080
	v_mfma_f32_16x16x32_fp8_fp8 v[136:139], a[16:17], v[200:201], v[136:139]// 000000004EC4: D3F30088 0E239110
	v_mfma_f32_16x16x32_fp8_fp8 v[136:139], a[18:19], v[202:203], v[136:139]// 000000004ECC: D3F30088 0E239512
	buffer_load_dwordx4 a[96:99], v37, s[92:95], 0 offen       // 000000004ED4: E05C1000 80976025
	v_mfma_f32_16x16x32_fp8_fp8 v[136:139], a[20:21], v[204:205], v[136:139]// 000000004EDC: D3F30088 0E239914
	v_mfma_f32_16x16x32_fp8_fp8 v[136:139], a[22:23], v[206:207], v[136:139]// 000000004EE4: D3F30088 0E239D16
	buffer_load_dword v32, s[20:23], 0 offen lds               // 000000004EEC: E0511000 80050020
	buffer_load_dword v32, s[20:23], 0 offen offset:256 lds    // 000000004EF4: E0511100 80050020
	s_add_u32 m0, 0x28a0, s50                                  // 000000004EFC: 807C32FF 000028A0
	v_mfma_f32_16x16x32_fp8_fp8 v[136:139], a[24:25], v[208:209], v[136:139]// 000000004F04: D3F30088 0E23A118
	v_mfma_f32_16x16x32_fp8_fp8 v[136:139], a[26:27], v[210:211], v[136:139]// 000000004F0C: D3F30088 0E23A51A
	buffer_load_dwordx4 a[100:103], v37, s[92:95], 0 offen offset:1024// 000000004F14: E05C1400 80976425
	v_mfma_f32_16x16x32_fp8_fp8 v[136:139], a[28:29], v[212:213], v[136:139]// 000000004F1C: D3F30088 0E23A91C
	v_mfma_f32_16x16x32_fp8_fp8 v[136:139], a[30:31], v[214:215], v[136:139]// 000000004F24: D3F30088 0E23AD1E
	buffer_load_dword v33, s[20:23], 0 offen lds               // 000000004F2C: E0511000 80050021
	buffer_load_dword v33, s[20:23], 0 offen offset:256 lds    // 000000004F34: E0511100 80050021
	s_add_u32 m0, 0x30c0, s50                                  // 000000004F3C: 807C32FF 000030C0
	v_mfma_f32_16x16x32_fp8_fp8 v[140:143], a[16:17], v[216:217], v[140:143]// 000000004F44: D3F3008C 0E33B110
	v_mfma_f32_16x16x32_fp8_fp8 v[140:143], a[18:19], v[218:219], v[140:143]// 000000004F4C: D3F3008C 0E33B512
	buffer_load_dwordx4 a[104:107], v37, s[92:95], 0 offen offset:2048// 000000004F54: E05C1800 80976825
	v_mfma_f32_16x16x32_fp8_fp8 v[140:143], a[20:21], v[220:221], v[140:143]// 000000004F5C: D3F3008C 0E33B914
	v_mfma_f32_16x16x32_fp8_fp8 v[140:143], a[22:23], v[222:223], v[140:143]// 000000004F64: D3F3008C 0E33BD16
	buffer_load_dword v34, s[20:23], 0 offen lds               // 000000004F6C: E0511000 80050022
	buffer_load_dword v34, s[20:23], 0 offen offset:256 lds    // 000000004F74: E0511100 80050022
	s_add_u32 m0, 0x38e0, s50                                  // 000000004F7C: 807C32FF 000038E0
	v_mfma_f32_16x16x32_fp8_fp8 v[140:143], a[24:25], v[224:225], v[140:143]// 000000004F84: D3F3008C 0E33C118
	v_mfma_f32_16x16x32_fp8_fp8 v[140:143], a[26:27], v[226:227], v[140:143]// 000000004F8C: D3F3008C 0E33C51A
	buffer_load_dwordx4 a[108:111], v37, s[92:95], 0 offen offset:3072// 000000004F94: E05C1C00 80976C25
	v_mfma_f32_16x16x32_fp8_fp8 v[140:143], a[28:29], v[228:229], v[140:143]// 000000004F9C: D3F3008C 0E33C91C
	v_mfma_f32_16x16x32_fp8_fp8 v[140:143], a[30:31], v[230:231], v[140:143]// 000000004FA4: D3F3008C 0E33CD1E
	buffer_load_dword v35, s[20:23], 0 offen lds               // 000000004FAC: E0511000 80050023
	buffer_load_dword v35, s[20:23], 0 offen offset:256 lds    // 000000004FB4: E0511100 80050023
	s_add_u32 m0, 0, s51                                       // 000000004FBC: 807C3380
	buffer_load_dword v14, v6, s[28:31], 0 offen               // 000000004FC0: E0501000 80070E06
	s_waitcnt vmcnt(33)                                        // 000000004FC8: BF8C8F71
	v_mfma_f32_16x16x32_fp8_fp8 v[144:147], a[32:33], v[200:201], v[144:147]// 000000004FCC: D3F30090 0E439120
	v_mfma_f32_16x16x32_fp8_fp8 v[144:147], a[34:35], v[202:203], v[144:147]// 000000004FD4: D3F30090 0E439522
	buffer_load_dwordx4 a[112:115], v38, s[92:95], 0 offen     // 000000004FDC: E05C1000 80977026
	v_mfma_f32_16x16x32_fp8_fp8 v[144:147], a[36:37], v[204:205], v[144:147]// 000000004FE4: D3F30090 0E439924
	v_mfma_f32_16x16x32_fp8_fp8 v[144:147], a[38:39], v[206:207], v[144:147]// 000000004FEC: D3F30090 0E439D26
	v_mfma_f32_16x16x32_fp8_fp8 v[144:147], a[40:41], v[208:209], v[144:147]// 000000004FF4: D3F30090 0E43A128
	v_mfma_f32_16x16x32_fp8_fp8 v[144:147], a[42:43], v[210:211], v[144:147]// 000000004FFC: D3F30090 0E43A52A
	buffer_load_dwordx4 a[116:119], v38, s[92:95], 0 offen offset:1024// 000000005004: E05C1400 80977426
	v_mfma_f32_16x16x32_fp8_fp8 v[144:147], a[44:45], v[212:213], v[144:147]// 00000000500C: D3F30090 0E43A92C
	v_mfma_f32_16x16x32_fp8_fp8 v[144:147], a[46:47], v[214:215], v[144:147]// 000000005014: D3F30090 0E43AD2E
	v_mfma_f32_16x16x32_fp8_fp8 v[148:151], a[32:33], v[216:217], v[148:151]// 00000000501C: D3F30094 0E53B120
	v_mfma_f32_16x16x32_fp8_fp8 v[148:151], a[34:35], v[218:219], v[148:151]// 000000005024: D3F30094 0E53B522
	buffer_load_dwordx4 a[120:123], v38, s[92:95], 0 offen offset:2048// 00000000502C: E05C1800 80977826
	v_mfma_f32_16x16x32_fp8_fp8 v[148:151], a[36:37], v[220:221], v[148:151]// 000000005034: D3F30094 0E53B924
	v_mfma_f32_16x16x32_fp8_fp8 v[148:151], a[38:39], v[222:223], v[148:151]// 00000000503C: D3F30094 0E53BD26
	v_mfma_f32_16x16x32_fp8_fp8 v[148:151], a[40:41], v[224:225], v[148:151]// 000000005044: D3F30094 0E53C128
	v_mfma_f32_16x16x32_fp8_fp8 v[148:151], a[42:43], v[226:227], v[148:151]// 00000000504C: D3F30094 0E53C52A
	buffer_load_dwordx4 a[124:127], v38, s[92:95], 0 offen offset:3072// 000000005054: E05C1C00 80977C26
	v_mfma_f32_16x16x32_fp8_fp8 v[148:151], a[44:45], v[228:229], v[148:151]// 00000000505C: D3F30094 0E53C92C
	v_mfma_f32_16x16x32_fp8_fp8 v[148:151], a[46:47], v[230:231], v[148:151]// 000000005064: D3F30094 0E53CD2E
	s_waitcnt vmcnt(33)                                        // 00000000506C: BF8C8F71
	v_mfma_f32_16x16x32_fp8_fp8 v[152:155], a[48:49], v[200:201], v[152:155]// 000000005070: D3F30098 0E639130
	v_mfma_f32_16x16x32_fp8_fp8 v[152:155], a[50:51], v[202:203], v[152:155]// 000000005078: D3F30098 0E639532
	buffer_load_dwordx4 a[128:131], v39, s[92:95], 0 offen     // 000000005080: E05C1000 80978027
	v_mfma_f32_16x16x32_fp8_fp8 v[152:155], a[52:53], v[204:205], v[152:155]// 000000005088: D3F30098 0E639934
	v_mfma_f32_16x16x32_fp8_fp8 v[152:155], a[54:55], v[206:207], v[152:155]// 000000005090: D3F30098 0E639D36
	v_mfma_f32_16x16x32_fp8_fp8 v[152:155], a[56:57], v[208:209], v[152:155]// 000000005098: D3F30098 0E63A138
	v_mfma_f32_16x16x32_fp8_fp8 v[152:155], a[58:59], v[210:211], v[152:155]// 0000000050A0: D3F30098 0E63A53A
	buffer_load_dwordx4 a[132:135], v39, s[92:95], 0 offen offset:1024// 0000000050A8: E05C1400 80978427
	v_mfma_f32_16x16x32_fp8_fp8 v[152:155], a[60:61], v[212:213], v[152:155]// 0000000050B0: D3F30098 0E63A93C
	v_mfma_f32_16x16x32_fp8_fp8 v[152:155], a[62:63], v[214:215], v[152:155]// 0000000050B8: D3F30098 0E63AD3E
	v_mfma_f32_16x16x32_fp8_fp8 v[156:159], a[48:49], v[216:217], v[156:159]// 0000000050C0: D3F3009C 0E73B130
	v_mfma_f32_16x16x32_fp8_fp8 v[156:159], a[50:51], v[218:219], v[156:159]// 0000000050C8: D3F3009C 0E73B532
	buffer_load_dwordx4 a[136:139], v39, s[92:95], 0 offen offset:2048// 0000000050D0: E05C1800 80978827
	v_mfma_f32_16x16x32_fp8_fp8 v[156:159], a[52:53], v[220:221], v[156:159]// 0000000050D8: D3F3009C 0E73B934
	v_mfma_f32_16x16x32_fp8_fp8 v[156:159], a[54:55], v[222:223], v[156:159]// 0000000050E0: D3F3009C 0E73BD36
	v_mfma_f32_16x16x32_fp8_fp8 v[156:159], a[56:57], v[224:225], v[156:159]// 0000000050E8: D3F3009C 0E73C138
	v_mfma_f32_16x16x32_fp8_fp8 v[156:159], a[58:59], v[226:227], v[156:159]// 0000000050F0: D3F3009C 0E73C53A
	buffer_load_dwordx4 a[140:143], v39, s[92:95], 0 offen offset:3072// 0000000050F8: E05C1C00 80978C27
	v_mfma_f32_16x16x32_fp8_fp8 v[156:159], a[60:61], v[228:229], v[156:159]// 000000005100: D3F3009C 0E73C93C
	v_mfma_f32_16x16x32_fp8_fp8 v[156:159], a[62:63], v[230:231], v[156:159]// 000000005108: D3F3009C 0E73CD3E
	s_waitcnt vmcnt(33)                                        // 000000005110: BF8C8F71
	v_mfma_f32_16x16x32_fp8_fp8 v[160:163], a[64:65], v[200:201], v[160:163]// 000000005114: D3F300A0 0E839140
	v_mfma_f32_16x16x32_fp8_fp8 v[160:163], a[66:67], v[202:203], v[160:163]// 00000000511C: D3F300A0 0E839542
	buffer_load_dwordx4 a[144:147], v40, s[92:95], 0 offen     // 000000005124: E05C1000 80979028
	v_mfma_f32_16x16x32_fp8_fp8 v[160:163], a[68:69], v[204:205], v[160:163]// 00000000512C: D3F300A0 0E839944
	v_mfma_f32_16x16x32_fp8_fp8 v[160:163], a[70:71], v[206:207], v[160:163]// 000000005134: D3F300A0 0E839D46
	v_mfma_f32_16x16x32_fp8_fp8 v[160:163], a[72:73], v[208:209], v[160:163]// 00000000513C: D3F300A0 0E83A148
	v_mfma_f32_16x16x32_fp8_fp8 v[160:163], a[74:75], v[210:211], v[160:163]// 000000005144: D3F300A0 0E83A54A
	buffer_load_dwordx4 a[148:151], v40, s[92:95], 0 offen offset:1024// 00000000514C: E05C1400 80979428
	v_mfma_f32_16x16x32_fp8_fp8 v[160:163], a[76:77], v[212:213], v[160:163]// 000000005154: D3F300A0 0E83A94C
	v_mfma_f32_16x16x32_fp8_fp8 v[160:163], a[78:79], v[214:215], v[160:163]// 00000000515C: D3F300A0 0E83AD4E
	v_mfma_f32_16x16x32_fp8_fp8 v[164:167], a[64:65], v[216:217], v[164:167]// 000000005164: D3F300A4 0E93B140
	v_mfma_f32_16x16x32_fp8_fp8 v[164:167], a[66:67], v[218:219], v[164:167]// 00000000516C: D3F300A4 0E93B542
	buffer_load_dwordx4 a[152:155], v40, s[92:95], 0 offen offset:2048// 000000005174: E05C1800 80979828
	v_mfma_f32_16x16x32_fp8_fp8 v[164:167], a[68:69], v[220:221], v[164:167]// 00000000517C: D3F300A4 0E93B944
	v_mfma_f32_16x16x32_fp8_fp8 v[164:167], a[70:71], v[222:223], v[164:167]// 000000005184: D3F300A4 0E93BD46
	v_mfma_f32_16x16x32_fp8_fp8 v[164:167], a[72:73], v[224:225], v[164:167]// 00000000518C: D3F300A4 0E93C148
	v_mfma_f32_16x16x32_fp8_fp8 v[164:167], a[74:75], v[226:227], v[164:167]// 000000005194: D3F300A4 0E93C54A
	buffer_load_dwordx4 a[156:159], v40, s[92:95], 0 offen offset:3072// 00000000519C: E05C1C00 80979C28
	v_mfma_f32_16x16x32_fp8_fp8 v[164:167], a[76:77], v[228:229], v[164:167]// 0000000051A4: D3F300A4 0E93C94C
	v_mfma_f32_16x16x32_fp8_fp8 v[164:167], a[78:79], v[230:231], v[164:167]// 0000000051AC: D3F300A4 0E93CD4E
	v_mov_b32_e32 v42, v26                                     // 0000000051B4: 7E54031A
	v_mov_b32_e32 v44, v27                                     // 0000000051B8: 7E58031B
	v_mov_b32_e32 v43, v42                                     // 0000000051BC: 7E56032A
	v_mov_b32_e32 v45, v44                                     // 0000000051C0: 7E5A032C
	v_pk_mul_f32 v[128:129], v[42:43], v[128:129]              // 0000000051C4: D3B14080 1803012A
	v_pk_mul_f32 v[130:131], v[42:43], v[130:131]              // 0000000051CC: D3B14082 1803052A
	v_pk_mul_f32 v[132:133], v[44:45], v[132:133]              // 0000000051D4: D3B14084 1803092C
	v_pk_mul_f32 v[134:135], v[44:45], v[134:135]              // 0000000051DC: D3B14086 18030D2C
	v_pk_mul_f32 v[136:137], v[42:43], v[136:137]              // 0000000051E4: D3B14088 1803112A
	v_pk_mul_f32 v[138:139], v[42:43], v[138:139]              // 0000000051EC: D3B1408A 1803152A
	v_pk_mul_f32 v[140:141], v[44:45], v[140:141]              // 0000000051F4: D3B1408C 1803192C
	v_pk_mul_f32 v[142:143], v[44:45], v[142:143]              // 0000000051FC: D3B1408E 18031D2C
	v_pk_mul_f32 v[144:145], v[42:43], v[144:145]              // 000000005204: D3B14090 1803212A
	v_pk_mul_f32 v[146:147], v[42:43], v[146:147]              // 00000000520C: D3B14092 1803252A
	v_pk_mul_f32 v[148:149], v[44:45], v[148:149]              // 000000005214: D3B14094 1803292C
	v_pk_mul_f32 v[150:151], v[44:45], v[150:151]              // 00000000521C: D3B14096 18032D2C
	v_pk_mul_f32 v[152:153], v[42:43], v[152:153]              // 000000005224: D3B14098 1803312A
	v_pk_mul_f32 v[154:155], v[42:43], v[154:155]              // 00000000522C: D3B1409A 1803352A
	v_pk_mul_f32 v[156:157], v[44:45], v[156:157]              // 000000005234: D3B1409C 1803392C
	v_pk_mul_f32 v[158:159], v[44:45], v[158:159]              // 00000000523C: D3B1409E 18033D2C
	v_pk_mul_f32 v[160:161], v[42:43], v[160:161]              // 000000005244: D3B140A0 1803412A
	v_pk_mul_f32 v[162:163], v[42:43], v[162:163]              // 00000000524C: D3B140A2 1803452A
	v_pk_mul_f32 v[164:165], v[44:45], v[164:165]              // 000000005254: D3B140A4 1803492C
	v_pk_mul_f32 v[166:167], v[44:45], v[166:167]              // 00000000525C: D3B140A6 18034D2C
	v_rcp_f32_e32 v42, v26                                     // 000000005264: 7E54451A
	v_rcp_f32_e32 v44, v27                                     // 000000005268: 7E58451B
	v_mov_b32_e32 v43, v42                                     // 00000000526C: 7E56032A
	v_mov_b32_e32 v45, v44                                     // 000000005270: 7E5A032C
	v_pk_mul_f32 v[64:65], v[42:43], v[64:65]                  // 000000005274: D3B14040 1802812A
	v_pk_mul_f32 v[66:67], v[42:43], v[66:67]                  // 00000000527C: D3B14042 1802852A
	v_pk_mul_f32 v[68:69], v[44:45], v[68:69]                  // 000000005284: D3B14044 1802892C
	v_pk_mul_f32 v[70:71], v[44:45], v[70:71]                  // 00000000528C: D3B14046 18028D2C
	v_pk_mul_f32 v[72:73], v[42:43], v[72:73]                  // 000000005294: D3B14048 1802912A
	v_pk_mul_f32 v[74:75], v[42:43], v[74:75]                  // 00000000529C: D3B1404A 1802952A
	v_pk_mul_f32 v[76:77], v[44:45], v[76:77]                  // 0000000052A4: D3B1404C 1802992C
	v_pk_mul_f32 v[78:79], v[44:45], v[78:79]                  // 0000000052AC: D3B1404E 18029D2C
	v_pk_mul_f32 v[80:81], v[42:43], v[80:81]                  // 0000000052B4: D3B14050 1802A12A
	v_pk_mul_f32 v[82:83], v[42:43], v[82:83]                  // 0000000052BC: D3B14052 1802A52A
	v_pk_mul_f32 v[84:85], v[44:45], v[84:85]                  // 0000000052C4: D3B14054 1802A92C
	v_pk_mul_f32 v[86:87], v[44:45], v[86:87]                  // 0000000052CC: D3B14056 1802AD2C
	v_pk_mul_f32 v[88:89], v[42:43], v[88:89]                  // 0000000052D4: D3B14058 1802B12A
	v_pk_mul_f32 v[90:91], v[42:43], v[90:91]                  // 0000000052DC: D3B1405A 1802B52A
	v_pk_mul_f32 v[92:93], v[44:45], v[92:93]                  // 0000000052E4: D3B1405C 1802B92C
	v_pk_mul_f32 v[94:95], v[44:45], v[94:95]                  // 0000000052EC: D3B1405E 1802BD2C
	v_pk_mul_f32 v[96:97], v[42:43], v[96:97]                  // 0000000052F4: D3B14060 1802C12A
	v_pk_mul_f32 v[98:99], v[42:43], v[98:99]                  // 0000000052FC: D3B14062 1802C52A
	v_pk_mul_f32 v[100:101], v[44:45], v[100:101]              // 000000005304: D3B14064 1802C92C
	v_pk_mul_f32 v[102:103], v[44:45], v[102:103]              // 00000000530C: D3B14066 1802CD2C
	s_waitcnt vmcnt(12)                                        // 000000005314: BF8C0F7C
	s_barrier                                                  // 000000005318: BF8A0000
	v_mfma_f32_16x16x32_fp8_fp8 v[64:67], a[80:81], v[200:201], v[64:67]// 00000000531C: D3F30040 0D039150
	ds_read_b64 v[168:169], v2 offset:2048                     // 000000005324: D8EC0800 A8000002
	ds_read_b64 v[172:173], v2 offset:10368                    // 00000000532C: D8EC2880 AC000002
	v_mfma_f32_16x16x32_fp8_fp8 v[64:67], a[82:83], v[202:203], v[64:67]// 000000005334: D3F30040 0D039552
	buffer_load_dwordx4 a[0:3], v36, s[24:27], 0 offen         // 00000000533C: E05C1000 80860024
	v_mfma_f32_16x16x32_fp8_fp8 v[64:67], a[84:85], v[204:205], v[64:67]// 000000005344: D3F30040 0D039954
	ds_read_b64 v[176:177], v2 offset:2176                     // 00000000534C: D8EC0880 B0000002
	ds_read_b64 v[180:181], v2 offset:10496                    // 000000005354: D8EC2900 B4000002
	v_mfma_f32_16x16x32_fp8_fp8 v[64:67], a[86:87], v[206:207], v[64:67]// 00000000535C: D3F30040 0D039D56
	v_mfma_f32_16x16x32_fp8_fp8 v[64:67], a[88:89], v[208:209], v[64:67]// 000000005364: D3F30040 0D03A158
	ds_read_b64 v[184:185], v2 offset:2304                     // 00000000536C: D8EC0900 B8000002
	ds_read_b64 v[188:189], v2 offset:10624                    // 000000005374: D8EC2980 BC000002
	v_mfma_f32_16x16x32_fp8_fp8 v[64:67], a[90:91], v[210:211], v[64:67]// 00000000537C: D3F30040 0D03A55A
	buffer_load_dwordx4 a[4:7], v36, s[24:27], 0 offen offset:1024// 000000005384: E05C1400 80860424
	v_mfma_f32_16x16x32_fp8_fp8 v[64:67], a[92:93], v[212:213], v[64:67]// 00000000538C: D3F30040 0D03A95C
	ds_read_b64 v[192:193], v2 offset:2432                     // 000000005394: D8EC0980 C0000002
	ds_read_b64 v[196:197], v2 offset:10752                    // 00000000539C: D8EC2A00 C4000002
	v_mfma_f32_16x16x32_fp8_fp8 v[64:67], a[94:95], v[214:215], v[64:67]// 0000000053A4: D3F30040 0D03AD5E
	s_waitcnt lgkmcnt(4)                                       // 0000000053AC: BF8CC47F
	v_and_b32_e32 v171, 0xffff0000, v169                       // 0000000053B0: 275752FF FFFF0000
	v_lshlrev_b32_e32 v170, 16, v169                           // 0000000053B8: 25555290
	v_and_b32_e32 v169, 0xffff0000, v168                       // 0000000053BC: 275350FF FFFF0000
	v_lshlrev_b32_e32 v168, 16, v168                           // 0000000053C4: 25515090
	v_and_b32_e32 v175, 0xffff0000, v173                       // 0000000053C8: 275F5AFF FFFF0000
	v_lshlrev_b32_e32 v174, 16, v173                           // 0000000053D0: 255D5A90
	v_and_b32_e32 v173, 0xffff0000, v172                       // 0000000053D4: 275B58FF FFFF0000
	v_lshlrev_b32_e32 v172, 16, v172                           // 0000000053DC: 25595890
	v_and_b32_e32 v179, 0xffff0000, v177                       // 0000000053E0: 276762FF FFFF0000
	v_lshlrev_b32_e32 v178, 16, v177                           // 0000000053E8: 25656290
	v_and_b32_e32 v177, 0xffff0000, v176                       // 0000000053EC: 276360FF FFFF0000
	v_lshlrev_b32_e32 v176, 16, v176                           // 0000000053F4: 25616090
	v_and_b32_e32 v183, 0xffff0000, v181                       // 0000000053F8: 276F6AFF FFFF0000
	v_lshlrev_b32_e32 v182, 16, v181                           // 000000005400: 256D6A90
	v_and_b32_e32 v181, 0xffff0000, v180                       // 000000005404: 276B68FF FFFF0000
	v_lshlrev_b32_e32 v180, 16, v180                           // 00000000540C: 25696890
	v_mul_f32_dpp v168, v14, v168 row_newbcast:0 row_mask:0xf bank_mask:0xf// 000000005410: 0B5150FA FF01500E
	v_mul_f32_dpp v169, v14, v169 row_newbcast:1 row_mask:0xf bank_mask:0xf// 000000005418: 0B5352FA FF01510E
	v_mul_f32_dpp v170, v14, v170 row_newbcast:2 row_mask:0xf bank_mask:0xf// 000000005420: 0B5554FA FF01520E
	v_mul_f32_dpp v171, v14, v171 row_newbcast:3 row_mask:0xf bank_mask:0xf// 000000005428: 0B5756FA FF01530E
	v_mul_f32_dpp v172, v14, v172 row_newbcast:0 row_mask:0xf bank_mask:0xf// 000000005430: 0B5958FA FF01500E
	v_mul_f32_dpp v173, v14, v173 row_newbcast:1 row_mask:0xf bank_mask:0xf// 000000005438: 0B5B5AFA FF01510E
	v_mul_f32_dpp v174, v14, v174 row_newbcast:2 row_mask:0xf bank_mask:0xf// 000000005440: 0B5D5CFA FF01520E
	v_mul_f32_dpp v175, v14, v175 row_newbcast:3 row_mask:0xf bank_mask:0xf// 000000005448: 0B5F5EFA FF01530E
	v_mul_f32_dpp v176, v14, v176 row_newbcast:4 row_mask:0xf bank_mask:0xf// 000000005450: 0B6160FA FF01540E
	v_mul_f32_dpp v177, v14, v177 row_newbcast:5 row_mask:0xf bank_mask:0xf// 000000005458: 0B6362FA FF01550E
	v_mul_f32_dpp v178, v14, v178 row_newbcast:6 row_mask:0xf bank_mask:0xf// 000000005460: 0B6564FA FF01560E
	v_mul_f32_dpp v179, v14, v179 row_newbcast:7 row_mask:0xf bank_mask:0xf// 000000005468: 0B6766FA FF01570E
	v_mul_f32_dpp v180, v14, v180 row_newbcast:4 row_mask:0xf bank_mask:0xf// 000000005470: 0B6968FA FF01540E
	v_mul_f32_dpp v181, v14, v181 row_newbcast:5 row_mask:0xf bank_mask:0xf// 000000005478: 0B6B6AFA FF01550E
	v_mul_f32_dpp v182, v14, v182 row_newbcast:6 row_mask:0xf bank_mask:0xf// 000000005480: 0B6D6CFA FF01560E
	v_mul_f32_dpp v183, v14, v183 row_newbcast:7 row_mask:0xf bank_mask:0xf// 000000005488: 0B6F6EFA FF01570E
	v_mfma_f32_16x16x32_fp8_fp8 v[68:71], a[80:81], v[216:217], v[68:71]// 000000005490: D3F30044 0D13B150
	v_mfma_f32_16x16x32_fp8_fp8 v[68:71], a[82:83], v[218:219], v[68:71]// 000000005498: D3F30044 0D13B552
	buffer_load_dwordx4 a[8:11], v36, s[24:27], 0 offen offset:2048// 0000000054A0: E05C1800 80860824
	v_mfma_f32_16x16x32_fp8_fp8 v[68:71], a[84:85], v[220:221], v[68:71]// 0000000054A8: D3F30044 0D13B954
	v_mfma_f32_16x16x32_fp8_fp8 v[68:71], a[86:87], v[222:223], v[68:71]// 0000000054B0: D3F30044 0D13BD56
	v_mfma_f32_16x16x32_fp8_fp8 v[68:71], a[88:89], v[224:225], v[68:71]// 0000000054B8: D3F30044 0D13C158
	v_mfma_f32_16x16x32_fp8_fp8 v[68:71], a[90:91], v[226:227], v[68:71]// 0000000054C0: D3F30044 0D13C55A
	buffer_load_dwordx4 a[12:15], v36, s[24:27], 0 offen offset:3072// 0000000054C8: E05C1C00 80860C24
	v_mfma_f32_16x16x32_fp8_fp8 v[68:71], a[92:93], v[228:229], v[68:71]// 0000000054D0: D3F30044 0D13C95C
	v_mfma_f32_16x16x32_fp8_fp8 v[68:71], a[94:95], v[230:231], v[68:71]// 0000000054D8: D3F30044 0D13CD5E
	s_waitcnt lgkmcnt(0)                                       // 0000000054E0: BF8CC07F
	v_and_b32_e32 v187, 0xffff0000, v185                       // 0000000054E4: 277772FF FFFF0000
	v_lshlrev_b32_e32 v186, 16, v185                           // 0000000054EC: 25757290
	v_and_b32_e32 v185, 0xffff0000, v184                       // 0000000054F0: 277370FF FFFF0000
	v_lshlrev_b32_e32 v184, 16, v184                           // 0000000054F8: 25717090
	v_and_b32_e32 v191, 0xffff0000, v189                       // 0000000054FC: 277F7AFF FFFF0000
	v_lshlrev_b32_e32 v190, 16, v189                           // 000000005504: 257D7A90
	v_and_b32_e32 v189, 0xffff0000, v188                       // 000000005508: 277B78FF FFFF0000
	v_lshlrev_b32_e32 v188, 16, v188                           // 000000005510: 25797890
	v_and_b32_e32 v195, 0xffff0000, v193                       // 000000005514: 278782FF FFFF0000
	v_lshlrev_b32_e32 v194, 16, v193                           // 00000000551C: 25858290
	v_and_b32_e32 v193, 0xffff0000, v192                       // 000000005520: 278380FF FFFF0000
	v_lshlrev_b32_e32 v192, 16, v192                           // 000000005528: 25818090
	v_and_b32_e32 v199, 0xffff0000, v197                       // 00000000552C: 278F8AFF FFFF0000
	v_lshlrev_b32_e32 v198, 16, v197                           // 000000005534: 258D8A90
	v_and_b32_e32 v197, 0xffff0000, v196                       // 000000005538: 278B88FF FFFF0000
	v_lshlrev_b32_e32 v196, 16, v196                           // 000000005540: 25898890
	v_mul_f32_dpp v184, v14, v184 row_newbcast:8 row_mask:0xf bank_mask:0xf// 000000005544: 0B7170FA FF01580E
	v_mul_f32_dpp v185, v14, v185 row_newbcast:9 row_mask:0xf bank_mask:0xf// 00000000554C: 0B7372FA FF01590E
	v_mul_f32_dpp v186, v14, v186 row_newbcast:10 row_mask:0xf bank_mask:0xf// 000000005554: 0B7574FA FF015A0E
	v_mul_f32_dpp v187, v14, v187 row_newbcast:11 row_mask:0xf bank_mask:0xf// 00000000555C: 0B7776FA FF015B0E
	v_mul_f32_dpp v188, v14, v188 row_newbcast:8 row_mask:0xf bank_mask:0xf// 000000005564: 0B7978FA FF01580E
	v_mul_f32_dpp v189, v14, v189 row_newbcast:9 row_mask:0xf bank_mask:0xf// 00000000556C: 0B7B7AFA FF01590E
	v_mul_f32_dpp v190, v14, v190 row_newbcast:10 row_mask:0xf bank_mask:0xf// 000000005574: 0B7D7CFA FF015A0E
	v_mul_f32_dpp v191, v14, v191 row_newbcast:11 row_mask:0xf bank_mask:0xf// 00000000557C: 0B7F7EFA FF015B0E
	v_mul_f32_dpp v192, v14, v192 row_newbcast:12 row_mask:0xf bank_mask:0xf// 000000005584: 0B8180FA FF015C0E
	v_mul_f32_dpp v193, v14, v193 row_newbcast:13 row_mask:0xf bank_mask:0xf// 00000000558C: 0B8382FA FF015D0E
	v_mul_f32_dpp v194, v14, v194 row_newbcast:14 row_mask:0xf bank_mask:0xf// 000000005594: 0B8584FA FF015E0E
	v_mul_f32_dpp v195, v14, v195 row_newbcast:15 row_mask:0xf bank_mask:0xf// 00000000559C: 0B8786FA FF015F0E
	v_mul_f32_dpp v196, v14, v196 row_newbcast:12 row_mask:0xf bank_mask:0xf// 0000000055A4: 0B8988FA FF015C0E
	v_mul_f32_dpp v197, v14, v197 row_newbcast:13 row_mask:0xf bank_mask:0xf// 0000000055AC: 0B8B8AFA FF015D0E
	v_mul_f32_dpp v198, v14, v198 row_newbcast:14 row_mask:0xf bank_mask:0xf// 0000000055B4: 0B8D8CFA FF015E0E
	v_mul_f32_dpp v199, v14, v199 row_newbcast:15 row_mask:0xf bank_mask:0xf// 0000000055BC: 0B8F8EFA FF015F0E
	v_mfma_f32_16x16x32_fp8_fp8 v[72:75], a[96:97], v[200:201], v[72:75]// 0000000055C4: D3F30048 0D239160
	v_mfma_f32_16x16x32_fp8_fp8 v[72:75], a[98:99], v[202:203], v[72:75]// 0000000055CC: D3F30048 0D239562
	buffer_load_dwordx4 a[16:19], v37, s[24:27], 0 offen       // 0000000055D4: E05C1000 80861025
	v_mov_b32_e32 v46, 0x358637bd                              // 0000000055DC: 7E5C02FF 358637BD
	v_mov_b32_e32 v47, 0x358637bd                              // 0000000055E4: 7E5E02FF 358637BD
	v_max3_f32 v46, |v168|, |v169|, v46                        // 0000000055EC: D1D3032E 04BB53A8
	v_max3_f32 v46, |v170|, |v171|, v46                        // 0000000055F4: D1D3032E 04BB57AA
	v_max3_f32 v47, |v172|, |v173|, v47                        // 0000000055FC: D1D3032F 04BF5BAC
	v_max3_f32 v47, |v174|, |v175|, v47                        // 000000005604: D1D3032F 04BF5FAE
	v_max3_f32 v46, |v176|, |v177|, v46                        // 00000000560C: D1D3032E 04BB63B0
	v_max3_f32 v46, |v178|, |v179|, v46                        // 000000005614: D1D3032E 04BB67B2
	v_max3_f32 v47, |v180|, |v181|, v47                        // 00000000561C: D1D3032F 04BF6BB4
	v_max3_f32 v47, |v182|, |v183|, v47                        // 000000005624: D1D3032F 04BF6FB6
	v_max3_f32 v46, |v184|, |v185|, v46                        // 00000000562C: D1D3032E 04BB73B8
	v_max3_f32 v46, |v186|, |v187|, v46                        // 000000005634: D1D3032E 04BB77BA
	v_max3_f32 v47, |v188|, |v189|, v47                        // 00000000563C: D1D3032F 04BF7BBC
	v_max3_f32 v47, |v190|, |v191|, v47                        // 000000005644: D1D3032F 04BF7FBE
	v_max3_f32 v46, |v192|, |v193|, v46                        // 00000000564C: D1D3032E 04BB83C0
	v_max3_f32 v46, |v194|, |v195|, v46                        // 000000005654: D1D3032E 04BB87C2
	v_max3_f32 v47, |v196|, |v197|, v47                        // 00000000565C: D1D3032F 04BF8BC4
	v_max3_f32 v47, |v198|, |v199|, v47                        // 000000005664: D1D3032F 04BF8FC6
	v_mfma_f32_16x16x32_fp8_fp8 v[72:75], a[100:101], v[204:205], v[72:75]// 00000000566C: D3F30048 0D239964
	ds_write_b64 v3, v[46:47]                                  // 000000005674: D89A0000 00002E03
	v_mfma_f32_16x16x32_fp8_fp8 v[72:75], a[102:103], v[206:207], v[72:75]// 00000000567C: D3F30048 0D239D66
	v_mfma_f32_16x16x32_fp8_fp8 v[72:75], a[104:105], v[208:209], v[72:75]// 000000005684: D3F30048 0D23A168
	v_mfma_f32_16x16x32_fp8_fp8 v[72:75], a[106:107], v[210:211], v[72:75]// 00000000568C: D3F30048 0D23A56A
	buffer_load_dwordx4 a[20:23], v37, s[24:27], 0 offen offset:1024// 000000005694: E05C1400 80861425
	s_waitcnt lgkmcnt(0)                                       // 00000000569C: BF8CC07F
	s_barrier                                                  // 0000000056A0: BF8A0000
	v_mfma_f32_16x16x32_fp8_fp8 v[72:75], a[108:109], v[212:213], v[72:75]// 0000000056A4: D3F30048 0D23A96C
	ds_read_b64 v[46:47], v4                                   // 0000000056AC: D8EC0000 2E000004
	ds_read_b64 v[48:49], v4 offset:128                        // 0000000056B4: D8EC0080 30000004
	v_mfma_f32_16x16x32_fp8_fp8 v[72:75], a[110:111], v[214:215], v[72:75]// 0000000056BC: D3F30048 0D23AD6E
	v_mfma_f32_16x16x32_fp8_fp8 v[76:79], a[96:97], v[216:217], v[76:79]// 0000000056C4: D3F3004C 0D33B160
	ds_read_b64 v[50:51], v4 offset:256                        // 0000000056CC: D8EC0100 32000004
	ds_read_b64 v[52:53], v4 offset:384                        // 0000000056D4: D8EC0180 34000004
	v_mfma_f32_16x16x32_fp8_fp8 v[76:79], a[98:99], v[218:219], v[76:79]// 0000000056DC: D3F3004C 0D33B562
	buffer_load_dwordx4 a[24:27], v37, s[24:27], 0 offen offset:2048// 0000000056E4: E05C1800 80861825
	v_mfma_f32_16x16x32_fp8_fp8 v[76:79], a[100:101], v[220:221], v[76:79]// 0000000056EC: D3F3004C 0D33B964
	ds_read_b64 v[54:55], v4 offset:512                        // 0000000056F4: D8EC0200 36000004
	ds_read_b64 v[56:57], v4 offset:640                        // 0000000056FC: D8EC0280 38000004
	v_mfma_f32_16x16x32_fp8_fp8 v[76:79], a[102:103], v[222:223], v[76:79]// 000000005704: D3F3004C 0D33BD66
	v_mfma_f32_16x16x32_fp8_fp8 v[76:79], a[104:105], v[224:225], v[76:79]// 00000000570C: D3F3004C 0D33C168
	ds_read_b64 v[58:59], v4 offset:768                        // 000000005714: D8EC0300 3A000004
	ds_read_b64 v[60:61], v4 offset:896                        // 00000000571C: D8EC0380 3C000004
	v_mfma_f32_16x16x32_fp8_fp8 v[76:79], a[106:107], v[226:227], v[76:79]// 000000005724: D3F3004C 0D33C56A
	buffer_load_dwordx4 a[28:31], v37, s[24:27], 0 offen offset:3072// 00000000572C: E05C1C00 80861C25
	v_mfma_f32_16x16x32_fp8_fp8 v[76:79], a[108:109], v[228:229], v[76:79]// 000000005734: D3F3004C 0D33C96C
	v_mfma_f32_16x16x32_fp8_fp8 v[76:79], a[110:111], v[230:231], v[76:79]// 00000000573C: D3F3004C 0D33CD6E
	s_waitcnt vmcnt(16)                                        // 000000005744: BF8C4F70
	v_mfma_f32_16x16x32_fp8_fp8 v[80:83], a[112:113], v[200:201], v[80:83]// 000000005748: D3F30050 0D439170
	v_mfma_f32_16x16x32_fp8_fp8 v[80:83], a[114:115], v[202:203], v[80:83]// 000000005750: D3F30050 0D439572
	buffer_load_dwordx4 a[32:35], v38, s[24:27], 0 offen       // 000000005758: E05C1000 80862026
	s_waitcnt lgkmcnt(0)                                       // 000000005760: BF8CC07F
	v_mov_b32_e32 v22, 0x358637bd                              // 000000005764: 7E2C02FF 358637BD
	v_mov_b32_e32 v23, 0x358637bd                              // 00000000576C: 7E2E02FF 358637BD
	v_max3_f32 v22, |v46|, |v48|, v22                          // 000000005774: D1D30316 045A612E
	v_max3_f32 v23, |v47|, |v49|, v23                          // 00000000577C: D1D30317 045E632F
	v_max3_f32 v22, |v50|, |v52|, v22                          // 000000005784: D1D30316 045A6932
	v_max3_f32 v23, |v51|, |v53|, v23                          // 00000000578C: D1D30317 045E6B33
	v_max3_f32 v22, |v54|, |v56|, v22                          // 000000005794: D1D30316 045A7136
	v_max3_f32 v23, |v55|, |v57|, v23                          // 00000000579C: D1D30317 045E7337
	v_max3_f32 v22, |v58|, |v60|, v22                          // 0000000057A4: D1D30316 045A793A
	v_max3_f32 v23, |v59|, |v61|, v23                          // 0000000057AC: D1D30317 045E7B3B
	v_mfma_f32_16x16x32_fp8_fp8 v[80:83], a[116:117], v[204:205], v[80:83]// 0000000057B4: D3F30050 0D439974
	ds_read_b64 v[46:47], v4 offset:1024                       // 0000000057BC: D8EC0400 2E000004
	ds_read_b64 v[48:49], v4 offset:1152                       // 0000000057C4: D8EC0480 30000004
	v_mfma_f32_16x16x32_fp8_fp8 v[80:83], a[118:119], v[206:207], v[80:83]// 0000000057CC: D3F30050 0D439D76
	v_mfma_f32_16x16x32_fp8_fp8 v[80:83], a[120:121], v[208:209], v[80:83]// 0000000057D4: D3F30050 0D43A178
	ds_read_b64 v[50:51], v4 offset:1280                       // 0000000057DC: D8EC0500 32000004
	ds_read_b64 v[52:53], v4 offset:1408                       // 0000000057E4: D8EC0580 34000004
	v_mfma_f32_16x16x32_fp8_fp8 v[80:83], a[122:123], v[210:211], v[80:83]// 0000000057EC: D3F30050 0D43A57A
	buffer_load_dwordx4 a[36:39], v38, s[24:27], 0 offen offset:1024// 0000000057F4: E05C1400 80862426
	v_mfma_f32_16x16x32_fp8_fp8 v[80:83], a[124:125], v[212:213], v[80:83]// 0000000057FC: D3F30050 0D43A97C
	ds_read_b64 v[54:55], v4 offset:1536                       // 000000005804: D8EC0600 36000004
	ds_read_b64 v[56:57], v4 offset:1664                       // 00000000580C: D8EC0680 38000004
	v_mfma_f32_16x16x32_fp8_fp8 v[80:83], a[126:127], v[214:215], v[80:83]// 000000005814: D3F30050 0D43AD7E
	v_mfma_f32_16x16x32_fp8_fp8 v[84:87], a[112:113], v[216:217], v[84:87]// 00000000581C: D3F30054 0D53B170
	ds_read_b64 v[58:59], v4 offset:1792                       // 000000005824: D8EC0700 3A000004
	ds_read_b64 v[60:61], v4 offset:1920                       // 00000000582C: D8EC0780 3C000004
	v_mfma_f32_16x16x32_fp8_fp8 v[84:87], a[114:115], v[218:219], v[84:87]// 000000005834: D3F30054 0D53B572
	buffer_load_dwordx4 a[40:43], v38, s[24:27], 0 offen offset:2048// 00000000583C: E05C1800 80862826
	v_mfma_f32_16x16x32_fp8_fp8 v[84:87], a[116:117], v[220:221], v[84:87]// 000000005844: D3F30054 0D53B974
	v_mfma_f32_16x16x32_fp8_fp8 v[84:87], a[118:119], v[222:223], v[84:87]// 00000000584C: D3F30054 0D53BD76
	v_mfma_f32_16x16x32_fp8_fp8 v[84:87], a[120:121], v[224:225], v[84:87]// 000000005854: D3F30054 0D53C178
	v_mfma_f32_16x16x32_fp8_fp8 v[84:87], a[122:123], v[226:227], v[84:87]// 00000000585C: D3F30054 0D53C57A
	buffer_load_dwordx4 a[44:47], v38, s[24:27], 0 offen offset:3072// 000000005864: E05C1C00 80862C26
	s_waitcnt lgkmcnt(0)                                       // 00000000586C: BF8CC07F
	v_max3_f32 v22, |v46|, |v48|, v22                          // 000000005870: D1D30316 045A612E
	v_max3_f32 v23, |v47|, |v49|, v23                          // 000000005878: D1D30317 045E632F
	v_max3_f32 v22, |v50|, |v52|, v22                          // 000000005880: D1D30316 045A6932
	v_max3_f32 v23, |v51|, |v53|, v23                          // 000000005888: D1D30317 045E6B33
	v_max3_f32 v22, |v54|, |v56|, v22                          // 000000005890: D1D30316 045A7136
	v_max3_f32 v23, |v55|, |v57|, v23                          // 000000005898: D1D30317 045E7337
	v_max3_f32 v22, |v58|, |v60|, v22                          // 0000000058A0: D1D30316 045A793A
	v_max3_f32 v23, |v59|, |v61|, v23                          // 0000000058A8: D1D30317 045E7B3B
	v_mov_b32_e32 v42, 0x43700000                              // 0000000058B0: 7E5402FF 43700000
	v_rcp_f32_e32 v22, v22                                     // 0000000058B8: 7E2C4516
	v_rcp_f32_e32 v23, v23                                     // 0000000058BC: 7E2E4517
	s_nop 1                                                    // 0000000058C0: BF800001
	v_mul_f32_e32 v22, v42, v22                                // 0000000058C4: 0A2C2D2A
	v_mul_f32_e32 v23, v42, v23                                // 0000000058C8: 0A2E2F2A
	v_rcp_f32_e32 v24, v22                                     // 0000000058CC: 7E304516
	v_rcp_f32_e32 v25, v23                                     // 0000000058D0: 7E324517
	v_mov_b32_e32 v42, v22                                     // 0000000058D4: 7E540316
	v_mov_b32_e32 v43, v22                                     // 0000000058D8: 7E560316
	v_mov_b32_e32 v44, v23                                     // 0000000058DC: 7E580317
	v_mov_b32_e32 v45, v23                                     // 0000000058E0: 7E5A0317
	v_pk_mul_f32 v[168:169], v[42:43], v[168:169]              // 0000000058E4: D3B140A8 1803512A
	v_pk_mul_f32 v[170:171], v[42:43], v[170:171]              // 0000000058EC: D3B140AA 1803552A
	v_cvt_pk_fp8_f32 v168, v168, v169                          // 0000000058F4: D2A200A8 000353A8
	v_cvt_pk_fp8_f32 v168, v170, v171 op_sel:[0,0,1]           // 0000000058FC: D2A240A8 000357AA
	v_pk_mul_f32 v[172:173], v[44:45], v[172:173]              // 000000005904: D3B140AC 1803592C
	v_pk_mul_f32 v[174:175], v[44:45], v[174:175]              // 00000000590C: D3B140AE 18035D2C
	v_cvt_pk_fp8_f32 v169, v172, v173                          // 000000005914: D2A200A9 00035BAC
	v_cvt_pk_fp8_f32 v169, v174, v175 op_sel:[0,0,1]           // 00000000591C: D2A240A9 00035FAE
	v_pk_mul_f32 v[176:177], v[42:43], v[176:177]              // 000000005924: D3B140B0 1803612A
	v_pk_mul_f32 v[178:179], v[42:43], v[178:179]              // 00000000592C: D3B140B2 1803652A
	v_cvt_pk_fp8_f32 v170, v176, v177                          // 000000005934: D2A200AA 000363B0
	v_cvt_pk_fp8_f32 v170, v178, v179 op_sel:[0,0,1]           // 00000000593C: D2A240AA 000367B2
	v_pk_mul_f32 v[180:181], v[44:45], v[180:181]              // 000000005944: D3B140B4 1803692C
	v_pk_mul_f32 v[182:183], v[44:45], v[182:183]              // 00000000594C: D3B140B6 18036D2C
	v_cvt_pk_fp8_f32 v171, v180, v181                          // 000000005954: D2A200AB 00036BB4
	v_cvt_pk_fp8_f32 v171, v182, v183 op_sel:[0,0,1]           // 00000000595C: D2A240AB 00036FB6
	v_pk_mul_f32 v[184:185], v[42:43], v[184:185]              // 000000005964: D3B140B8 1803712A
	v_pk_mul_f32 v[186:187], v[42:43], v[186:187]              // 00000000596C: D3B140BA 1803752A
	v_cvt_pk_fp8_f32 v172, v184, v185                          // 000000005974: D2A200AC 000373B8
	v_cvt_pk_fp8_f32 v172, v186, v187 op_sel:[0,0,1]           // 00000000597C: D2A240AC 000377BA
	v_pk_mul_f32 v[188:189], v[44:45], v[188:189]              // 000000005984: D3B140BC 1803792C
	v_pk_mul_f32 v[190:191], v[44:45], v[190:191]              // 00000000598C: D3B140BE 18037D2C
	v_cvt_pk_fp8_f32 v173, v188, v189                          // 000000005994: D2A200AD 00037BBC
	v_cvt_pk_fp8_f32 v173, v190, v191 op_sel:[0,0,1]           // 00000000599C: D2A240AD 00037FBE
	v_pk_mul_f32 v[192:193], v[42:43], v[192:193]              // 0000000059A4: D3B140C0 1803812A
	v_pk_mul_f32 v[194:195], v[42:43], v[194:195]              // 0000000059AC: D3B140C2 1803852A
	v_cvt_pk_fp8_f32 v174, v192, v193                          // 0000000059B4: D2A200AE 000383C0
	v_cvt_pk_fp8_f32 v174, v194, v195 op_sel:[0,0,1]           // 0000000059BC: D2A240AE 000387C2
	v_pk_mul_f32 v[196:197], v[44:45], v[196:197]              // 0000000059C4: D3B140C4 1803892C
	v_pk_mul_f32 v[198:199], v[44:45], v[198:199]              // 0000000059CC: D3B140C6 18038D2C
	v_cvt_pk_fp8_f32 v175, v196, v197                          // 0000000059D4: D2A200AF 00038BC4
	v_cvt_pk_fp8_f32 v175, v198, v199 op_sel:[0,0,1]           // 0000000059DC: D2A240AF 00038FC6
	v_mfma_f32_16x16x32_fp8_fp8 v[84:87], a[124:125], v[228:229], v[84:87]// 0000000059E4: D3F30054 0D53C97C
	ds_write_b32 v12, v168 offset:2048                         // 0000000059EC: D81A0800 0000A80C
	ds_write_b32 v12, v169 offset:6144                         // 0000000059F4: D81A1800 0000A90C
	v_mfma_f32_16x16x32_fp8_fp8 v[84:87], a[126:127], v[230:231], v[84:87]// 0000000059FC: D3F30054 0D53CD7E
	s_waitcnt vmcnt(16)                                        // 000000005A04: BF8C4F70
	v_mfma_f32_16x16x32_fp8_fp8 v[88:91], a[128:129], v[200:201], v[88:91]// 000000005A08: D3F30058 0D639180
	ds_write_b32 v12, v170 offset:3072                         // 000000005A10: D81A0C00 0000AA0C
	ds_write_b32 v12, v171 offset:7168                         // 000000005A18: D81A1C00 0000AB0C
	v_mfma_f32_16x16x32_fp8_fp8 v[88:91], a[130:131], v[202:203], v[88:91]// 000000005A20: D3F30058 0D639582
	buffer_load_dwordx4 a[48:51], v39, s[24:27], 0 offen       // 000000005A28: E05C1000 80863027
	v_mfma_f32_16x16x32_fp8_fp8 v[88:91], a[132:133], v[204:205], v[88:91]// 000000005A30: D3F30058 0D639984
	ds_write_b32 v12, v172 offset:4096                         // 000000005A38: D81A1000 0000AC0C
	ds_write_b32 v12, v173 offset:8192                         // 000000005A40: D81A2000 0000AD0C
	v_mfma_f32_16x16x32_fp8_fp8 v[88:91], a[134:135], v[206:207], v[88:91]// 000000005A48: D3F30058 0D639D86
	v_mfma_f32_16x16x32_fp8_fp8 v[88:91], a[136:137], v[208:209], v[88:91]// 000000005A50: D3F30058 0D63A188
	ds_write_b32 v12, v174 offset:5120                         // 000000005A58: D81A1400 0000AE0C
	ds_write_b32 v12, v175 offset:9216                         // 000000005A60: D81A2400 0000AF0C
	v_mfma_f32_16x16x32_fp8_fp8 v[88:91], a[138:139], v[210:211], v[88:91]// 000000005A68: D3F30058 0D63A58A
	buffer_load_dwordx4 a[52:55], v39, s[24:27], 0 offen offset:1024// 000000005A70: E05C1400 80863427
	v_mfma_f32_16x16x32_fp8_fp8 v[88:91], a[140:141], v[212:213], v[88:91]// 000000005A78: D3F30058 0D63A98C
	v_mfma_f32_16x16x32_fp8_fp8 v[88:91], a[142:143], v[214:215], v[88:91]// 000000005A80: D3F30058 0D63AD8E
	v_mfma_f32_16x16x32_fp8_fp8 v[92:95], a[128:129], v[216:217], v[92:95]// 000000005A88: D3F3005C 0D73B180
	v_mfma_f32_16x16x32_fp8_fp8 v[92:95], a[130:131], v[218:219], v[92:95]// 000000005A90: D3F3005C 0D73B582
	buffer_load_dwordx4 a[56:59], v39, s[24:27], 0 offen offset:2048// 000000005A98: E05C1800 80863827
	v_mfma_f32_16x16x32_fp8_fp8 v[92:95], a[132:133], v[220:221], v[92:95]// 000000005AA0: D3F3005C 0D73B984
	v_mfma_f32_16x16x32_fp8_fp8 v[92:95], a[134:135], v[222:223], v[92:95]// 000000005AA8: D3F3005C 0D73BD86
	s_waitcnt lgkmcnt(0)                                       // 000000005AB0: BF8CC07F
	s_barrier                                                  // 000000005AB4: BF8A0000
	v_mfma_f32_16x16x32_fp8_fp8 v[92:95], a[136:137], v[224:225], v[92:95]// 000000005AB8: D3F3005C 0D73C188
	ds_read_b64 v[168:169], v13 offset:2048                    // 000000005AC0: D8EC0800 A800000D
	ds_read_b64 v[170:171], v13 offset:2176                    // 000000005AC8: D8EC0880 AA00000D
	v_mfma_f32_16x16x32_fp8_fp8 v[92:95], a[138:139], v[226:227], v[92:95]// 000000005AD0: D3F3005C 0D73C58A
	buffer_load_dwordx4 a[60:63], v39, s[24:27], 0 offen offset:3072// 000000005AD8: E05C1C00 80863C27
	v_mfma_f32_16x16x32_fp8_fp8 v[92:95], a[140:141], v[228:229], v[92:95]// 000000005AE0: D3F3005C 0D73C98C
	ds_read_b64 v[172:173], v13 offset:3072                    // 000000005AE8: D8EC0C00 AC00000D
	ds_read_b64 v[174:175], v13 offset:3200                    // 000000005AF0: D8EC0C80 AE00000D
	v_mfma_f32_16x16x32_fp8_fp8 v[92:95], a[142:143], v[230:231], v[92:95]// 000000005AF8: D3F3005C 0D73CD8E
	s_waitcnt vmcnt(16)                                        // 000000005B00: BF8C4F70
	v_mfma_f32_16x16x32_fp8_fp8 v[96:99], a[144:145], v[200:201], v[96:99]// 000000005B04: D3F30060 0D839190
	ds_read_b64 v[176:177], v13 offset:4096                    // 000000005B0C: D8EC1000 B000000D
	ds_read_b64 v[178:179], v13 offset:4224                    // 000000005B14: D8EC1080 B200000D
	v_mfma_f32_16x16x32_fp8_fp8 v[96:99], a[146:147], v[202:203], v[96:99]// 000000005B1C: D3F30060 0D839592
	buffer_load_dwordx4 a[64:67], v40, s[24:27], 0 offen       // 000000005B24: E05C1000 80864028
	v_mfma_f32_16x16x32_fp8_fp8 v[96:99], a[148:149], v[204:205], v[96:99]// 000000005B2C: D3F30060 0D839994
	ds_read_b64 v[180:181], v13 offset:5120                    // 000000005B34: D8EC1400 B400000D
	ds_read_b64 v[182:183], v13 offset:5248                    // 000000005B3C: D8EC1480 B600000D
	v_mfma_f32_16x16x32_fp8_fp8 v[96:99], a[150:151], v[206:207], v[96:99]// 000000005B44: D3F30060 0D839D96
	v_mfma_f32_16x16x32_fp8_fp8 v[96:99], a[152:153], v[208:209], v[96:99]// 000000005B4C: D3F30060 0D83A198
	ds_read_b64 v[184:185], v13 offset:6144                    // 000000005B54: D8EC1800 B800000D
	ds_read_b64 v[186:187], v13 offset:6272                    // 000000005B5C: D8EC1880 BA00000D
	v_mfma_f32_16x16x32_fp8_fp8 v[96:99], a[154:155], v[210:211], v[96:99]// 000000005B64: D3F30060 0D83A59A
	buffer_load_dwordx4 a[68:71], v40, s[24:27], 0 offen offset:1024// 000000005B6C: E05C1400 80864428
	v_mfma_f32_16x16x32_fp8_fp8 v[96:99], a[156:157], v[212:213], v[96:99]// 000000005B74: D3F30060 0D83A99C
	ds_read_b64 v[188:189], v13 offset:7168                    // 000000005B7C: D8EC1C00 BC00000D
	ds_read_b64 v[190:191], v13 offset:7296                    // 000000005B84: D8EC1C80 BE00000D
	v_mfma_f32_16x16x32_fp8_fp8 v[96:99], a[158:159], v[214:215], v[96:99]// 000000005B8C: D3F30060 0D83AD9E
	v_mfma_f32_16x16x32_fp8_fp8 v[100:103], a[144:145], v[216:217], v[100:103]// 000000005B94: D3F30064 0D93B190
	ds_read_b64 v[192:193], v13 offset:8192                    // 000000005B9C: D8EC2000 C000000D
	ds_read_b64 v[194:195], v13 offset:8320                    // 000000005BA4: D8EC2080 C200000D
	v_mfma_f32_16x16x32_fp8_fp8 v[100:103], a[146:147], v[218:219], v[100:103]// 000000005BAC: D3F30064 0D93B592
	buffer_load_dwordx4 a[72:75], v40, s[24:27], 0 offen offset:2048// 000000005BB4: E05C1800 80864828
	v_mfma_f32_16x16x32_fp8_fp8 v[100:103], a[148:149], v[220:221], v[100:103]// 000000005BBC: D3F30064 0D93B994
	ds_read_b64 v[196:197], v13 offset:9216                    // 000000005BC4: D8EC2400 C400000D
	ds_read_b64 v[198:199], v13 offset:9344                    // 000000005BCC: D8EC2480 C600000D
	v_mfma_f32_16x16x32_fp8_fp8 v[100:103], a[150:151], v[222:223], v[100:103]// 000000005BD4: D3F30064 0D93BD96
	v_mfma_f32_16x16x32_fp8_fp8 v[100:103], a[152:153], v[224:225], v[100:103]// 000000005BDC: D3F30064 0D93C198
	v_mfma_f32_16x16x32_fp8_fp8 v[100:103], a[154:155], v[226:227], v[100:103]// 000000005BE4: D3F30064 0D93C59A
	buffer_load_dwordx4 a[76:79], v40, s[24:27], 0 offen offset:3072// 000000005BEC: E05C1C00 80864C28
	v_mfma_f32_16x16x32_fp8_fp8 v[100:103], a[156:157], v[228:229], v[100:103]// 000000005BF4: D3F30064 0D93C99C
	v_mfma_f32_16x16x32_fp8_fp8 v[100:103], a[158:159], v[230:231], v[100:103]// 000000005BFC: D3F30064 0D93CD9E
	s_add_u32 s60, 0x200, s80                                  // 000000005C04: 803C50FF 00000200
	s_cmp_lt_u32 s60, s81                                      // 000000005C0C: BF0A513C
	s_cselect_b32 s57, s57, 0                                  // 000000005C10: 85398039
	s_cselect_b32 s91, s91, 0                                  // 000000005C14: 855B805B
	s_add_u32 s60, 0x200, s80                                  // 000000005C18: 803C50FF 00000200
	s_cmp_lt_u32 s60, s81                                      // 000000005C20: BF0A513C
	s_cselect_b32 s58, s58, 0                                  // 000000005C24: 853A803A
	s_add_u32 s20, s57, s20                                    // 000000005C28: 80141439
	s_addc_u32 s21, 0, s21                                     // 000000005C2C: 82151580
	s_add_u32 s28, s91, s28                                    // 000000005C30: 801C1C5B
	s_addc_u32 s29, 0, s29                                     // 000000005C34: 821D1D80
	s_add_u32 s24, s58, s24                                    // 000000005C38: 8018183A
	s_addc_u32 s25, 0, s25                                     // 000000005C3C: 82191980
	s_add_u32 s92, s90, s92                                    // 000000005C40: 805C5C5A
	s_addc_u32 s93, 0, s93                                     // 000000005C44: 825D5D80
	v_mov_b32_e32 v42, v26                                     // 000000005C48: 7E54031A
	v_mov_b32_e32 v44, v27                                     // 000000005C4C: 7E58031B
	v_mov_b32_e32 v43, v42                                     // 000000005C50: 7E56032A
	v_mov_b32_e32 v45, v44                                     // 000000005C54: 7E5A032C
	v_pk_mul_f32 v[64:65], v[42:43], v[64:65]                  // 000000005C58: D3B14040 1802812A
	v_pk_mul_f32 v[66:67], v[42:43], v[66:67]                  // 000000005C60: D3B14042 1802852A
	v_pk_mul_f32 v[68:69], v[44:45], v[68:69]                  // 000000005C68: D3B14044 1802892C
	v_pk_mul_f32 v[70:71], v[44:45], v[70:71]                  // 000000005C70: D3B14046 18028D2C
	v_pk_mul_f32 v[72:73], v[42:43], v[72:73]                  // 000000005C78: D3B14048 1802912A
	v_pk_mul_f32 v[74:75], v[42:43], v[74:75]                  // 000000005C80: D3B1404A 1802952A
	v_pk_mul_f32 v[76:77], v[44:45], v[76:77]                  // 000000005C88: D3B1404C 1802992C
	v_pk_mul_f32 v[78:79], v[44:45], v[78:79]                  // 000000005C90: D3B1404E 18029D2C
	v_pk_mul_f32 v[80:81], v[42:43], v[80:81]                  // 000000005C98: D3B14050 1802A12A
	v_pk_mul_f32 v[82:83], v[42:43], v[82:83]                  // 000000005CA0: D3B14052 1802A52A
	v_pk_mul_f32 v[84:85], v[44:45], v[84:85]                  // 000000005CA8: D3B14054 1802A92C
	v_pk_mul_f32 v[86:87], v[44:45], v[86:87]                  // 000000005CB0: D3B14056 1802AD2C
	v_pk_mul_f32 v[88:89], v[42:43], v[88:89]                  // 000000005CB8: D3B14058 1802B12A
	v_pk_mul_f32 v[90:91], v[42:43], v[90:91]                  // 000000005CC0: D3B1405A 1802B52A
	v_pk_mul_f32 v[92:93], v[44:45], v[92:93]                  // 000000005CC8: D3B1405C 1802B92C
	v_pk_mul_f32 v[94:95], v[44:45], v[94:95]                  // 000000005CD0: D3B1405E 1802BD2C
	v_pk_mul_f32 v[96:97], v[42:43], v[96:97]                  // 000000005CD8: D3B14060 1802C12A
	v_pk_mul_f32 v[98:99], v[42:43], v[98:99]                  // 000000005CE0: D3B14062 1802C52A
	v_pk_mul_f32 v[100:101], v[44:45], v[100:101]              // 000000005CE8: D3B14064 1802C92C
	v_pk_mul_f32 v[102:103], v[44:45], v[102:103]              // 000000005CF0: D3B14066 1802CD2C
	s_addk_i32 s80, 0x100                                      // 000000005CF8: B7500100
	s_cmp_lt_i32 s80, s81                                      // 000000005CFC: BF045150
	s_cbranch_scc0 label_0BC2                                  // 000000005D00: BF840001
	s_branch label_03C5                                        // 000000005D04: BF82F803

0000000000005d08 <label_0BC2>:
	s_mov_b32 s36, -1                                          // 000000005D08: BEA400C1
	s_mov_b32 s37, -1                                          // 000000005D0C: BEA500C1
	s_mov_b64 s[60:61], 0                                      // 000000005D10: BEBC0180
	s_cmp_lt_u32 s82, s66                                      // 000000005D14: BF0A4252
	s_cselect_b64 s[20:21], s[36:37], s[60:61]                 // 000000005D18: 85943C24
	s_cmp_lt_u32 s83, s66                                      // 000000005D1C: BF0A4253
	s_cselect_b64 s[22:23], s[36:37], s[60:61]                 // 000000005D20: 85963C24
	s_cmp_lt_u32 s84, s66                                      // 000000005D24: BF0A4254
	s_cselect_b64 s[24:25], s[36:37], s[60:61]                 // 000000005D28: 85983C24
	s_cmp_lt_u32 s85, s66                                      // 000000005D2C: BF0A4255
	s_cselect_b64 s[26:27], s[36:37], s[60:61]                 // 000000005D30: 859A3C24
	s_cmp_lt_u32 s86, s66                                      // 000000005D34: BF0A4256
	s_cselect_b64 s[28:29], s[36:37], s[60:61]                 // 000000005D38: 859C3C24
	s_cmp_lt_u32 s87, s66                                      // 000000005D3C: BF0A4257
	s_cselect_b64 s[30:31], s[36:37], s[60:61]                 // 000000005D40: 859E3C24
	s_cmp_lt_u32 s88, s66                                      // 000000005D44: BF0A4258
	s_cselect_b64 s[32:33], s[36:37], s[60:61]                 // 000000005D48: 85A03C24
	s_cmp_lt_u32 s89, s66                                      // 000000005D4C: BF0A4259
	s_cselect_b64 s[34:35], s[36:37], s[60:61]                 // 000000005D50: 85A23C24
	v_mov_b32_e32 v54, 0xbfcc4231                              // 000000005D54: 7E6C02FF BFCC4231
	v_mov_b32_e32 v55, 0xbfcc4231                              // 000000005D5C: 7E6E02FF BFCC4231
	v_mov_b32_e32 v51, 0xffff0000                              // 000000005D64: 7E6602FF FFFF0000
	v_mov_b32_e32 v52, 0x7fff0000                              // 000000005D6C: 7E6802FF 7FFF0000
	v_mov_b32_e32 v53, 0x7fff                                  // 000000005D74: 7E6A02FF 00007FFF
	s_mul_i32 s60, s5, 16                                      // 000000005D7C: 923C9005
	s_mul_i32 s60, s60, s70                                    // 000000005D80: 923C463C
	v_lshlrev_b32_e32 v46, 4, v0                               // 000000005D84: 245C0084
	v_add_u32_e32 v46, s60, v46                                // 000000005D88: 685C5C3C
	s_mul_i32 s60, 64, s70                                     // 000000005D8C: 923C46C0
	v_add_u32_e32 v47, s60, v46                                // 000000005D90: 685E5C3C
	v_add_u32_e32 v48, s60, v47                                // 000000005D94: 68605E3C
	v_add_u32_e32 v49, s60, v48                                // 000000005D98: 6862603C
	v_lshrrev_b32_e32 v42, 4, v0                               // 000000005D9C: 20540084
	v_mul_i32_i24_e32 v3, 34, v42                              // 000000005DA0: 0C0654A2
	v_and_b32_e32 v42, 15, v0                                  // 000000005DA4: 2654008F
	v_mul_i32_i24_e32 v43, 2, v42                              // 000000005DA8: 0C565482
	v_add_u32_e32 v3, v43, v3                                  // 000000005DAC: 6806072B
	s_mul_i32 s60, s5, 0x88                                    // 000000005DB0: 923CFF05 00000088
	v_add_u32_e32 v3, s60, v3                                  // 000000005DB8: 6806063C
	v_lshlrev_b32_e32 v3, 2, v3                                // 000000005DBC: 24060682
	v_lshrrev_b32_e32 v42, 1, v0                               // 000000005DC0: 20540081
	v_mul_i32_i24_e32 v4, 34, v42                              // 000000005DC4: 0C0854A2
	v_and_b32_e32 v43, 1, v0                                   // 000000005DC8: 26560081
	v_add_u32_e32 v4, v43, v4                                  // 000000005DCC: 6808092B
	s_mul_i32 s60, s5, 2                                       // 000000005DD0: 923C8205
	v_add_u32_e32 v4, s60, v4                                  // 000000005DD4: 6808083C
	v_lshlrev_b32_e32 v4, 2, v4                                // 000000005DD8: 24080882
	v_mul_f32_dpp v128, v16, v128 row_newbcast:0 row_mask:0xf bank_mask:0xf// 000000005DDC: 0B0100FA FF015010
	v_mul_f32_dpp v129, v16, v129 row_newbcast:1 row_mask:0xf bank_mask:0xf// 000000005DE4: 0B0302FA FF015110
	v_mul_f32_dpp v130, v16, v130 row_newbcast:2 row_mask:0xf bank_mask:0xf// 000000005DEC: 0B0504FA FF015210
	v_mul_f32_dpp v131, v16, v131 row_newbcast:3 row_mask:0xf bank_mask:0xf// 000000005DF4: 0B0706FA FF015310
	v_mul_f32_dpp v132, v16, v132 row_newbcast:0 row_mask:0xf bank_mask:0xf// 000000005DFC: 0B0908FA FF015010
	v_mul_f32_dpp v133, v16, v133 row_newbcast:1 row_mask:0xf bank_mask:0xf// 000000005E04: 0B0B0AFA FF015110
	v_mul_f32_dpp v134, v16, v134 row_newbcast:2 row_mask:0xf bank_mask:0xf// 000000005E0C: 0B0D0CFA FF015210
	v_mul_f32_dpp v135, v16, v135 row_newbcast:3 row_mask:0xf bank_mask:0xf// 000000005E14: 0B0F0EFA FF015310
	v_mul_f32_dpp v136, v16, v136 row_newbcast:4 row_mask:0xf bank_mask:0xf// 000000005E1C: 0B1110FA FF015410
	v_mul_f32_dpp v137, v16, v137 row_newbcast:5 row_mask:0xf bank_mask:0xf// 000000005E24: 0B1312FA FF015510
	v_mul_f32_dpp v138, v16, v138 row_newbcast:6 row_mask:0xf bank_mask:0xf// 000000005E2C: 0B1514FA FF015610
	v_mul_f32_dpp v139, v16, v139 row_newbcast:7 row_mask:0xf bank_mask:0xf// 000000005E34: 0B1716FA FF015710
	v_mul_f32_dpp v140, v16, v140 row_newbcast:4 row_mask:0xf bank_mask:0xf// 000000005E3C: 0B1918FA FF015410
	v_mul_f32_dpp v141, v16, v141 row_newbcast:5 row_mask:0xf bank_mask:0xf// 000000005E44: 0B1B1AFA FF015510
	v_mul_f32_dpp v142, v16, v142 row_newbcast:6 row_mask:0xf bank_mask:0xf// 000000005E4C: 0B1D1CFA FF015610
	v_mul_f32_dpp v143, v16, v143 row_newbcast:7 row_mask:0xf bank_mask:0xf// 000000005E54: 0B1F1EFA FF015710
	v_mul_f32_dpp v144, v16, v144 row_newbcast:8 row_mask:0xf bank_mask:0xf// 000000005E5C: 0B2120FA FF015810
	v_mul_f32_dpp v145, v16, v145 row_newbcast:9 row_mask:0xf bank_mask:0xf// 000000005E64: 0B2322FA FF015910
	v_mul_f32_dpp v146, v16, v146 row_newbcast:10 row_mask:0xf bank_mask:0xf// 000000005E6C: 0B2524FA FF015A10
	v_mul_f32_dpp v147, v16, v147 row_newbcast:11 row_mask:0xf bank_mask:0xf// 000000005E74: 0B2726FA FF015B10
	v_mul_f32_dpp v148, v16, v148 row_newbcast:8 row_mask:0xf bank_mask:0xf// 000000005E7C: 0B2928FA FF015810
	v_mul_f32_dpp v149, v16, v149 row_newbcast:9 row_mask:0xf bank_mask:0xf// 000000005E84: 0B2B2AFA FF015910
	v_mul_f32_dpp v150, v16, v150 row_newbcast:10 row_mask:0xf bank_mask:0xf// 000000005E8C: 0B2D2CFA FF015A10
	v_mul_f32_dpp v151, v16, v151 row_newbcast:11 row_mask:0xf bank_mask:0xf// 000000005E94: 0B2F2EFA FF015B10
	v_mul_f32_dpp v152, v16, v152 row_newbcast:12 row_mask:0xf bank_mask:0xf// 000000005E9C: 0B3130FA FF015C10
	v_mul_f32_dpp v153, v16, v153 row_newbcast:13 row_mask:0xf bank_mask:0xf// 000000005EA4: 0B3332FA FF015D10
	v_mul_f32_dpp v154, v16, v154 row_newbcast:14 row_mask:0xf bank_mask:0xf// 000000005EAC: 0B3534FA FF015E10
	v_mul_f32_dpp v155, v16, v155 row_newbcast:15 row_mask:0xf bank_mask:0xf// 000000005EB4: 0B3736FA FF015F10
	v_mul_f32_dpp v156, v16, v156 row_newbcast:12 row_mask:0xf bank_mask:0xf// 000000005EBC: 0B3938FA FF015C10
	v_mul_f32_dpp v157, v16, v157 row_newbcast:13 row_mask:0xf bank_mask:0xf// 000000005EC4: 0B3B3AFA FF015D10
	v_mul_f32_dpp v158, v16, v158 row_newbcast:14 row_mask:0xf bank_mask:0xf// 000000005ECC: 0B3D3CFA FF015E10
	v_mul_f32_dpp v159, v16, v159 row_newbcast:15 row_mask:0xf bank_mask:0xf// 000000005ED4: 0B3F3EFA FF015F10
	v_mul_f32_dpp v160, v17, v160 row_newbcast:0 row_mask:0xf bank_mask:0xf// 000000005EDC: 0B4140FA FF015011
	v_mul_f32_dpp v161, v17, v161 row_newbcast:1 row_mask:0xf bank_mask:0xf// 000000005EE4: 0B4342FA FF015111
	v_mul_f32_dpp v162, v17, v162 row_newbcast:2 row_mask:0xf bank_mask:0xf// 000000005EEC: 0B4544FA FF015211
	v_mul_f32_dpp v163, v17, v163 row_newbcast:3 row_mask:0xf bank_mask:0xf// 000000005EF4: 0B4746FA FF015311
	v_mul_f32_dpp v164, v17, v164 row_newbcast:0 row_mask:0xf bank_mask:0xf// 000000005EFC: 0B4948FA FF015011
	v_mul_f32_dpp v165, v17, v165 row_newbcast:1 row_mask:0xf bank_mask:0xf// 000000005F04: 0B4B4AFA FF015111
	v_mul_f32_dpp v166, v17, v166 row_newbcast:2 row_mask:0xf bank_mask:0xf// 000000005F0C: 0B4D4CFA FF015211
	v_mul_f32_dpp v167, v17, v167 row_newbcast:3 row_mask:0xf bank_mask:0xf// 000000005F14: 0B4F4EFA FF015311
	v_mul_f32_dpp v64, v8, v64 row_newbcast:0 row_mask:0xf bank_mask:0xf// 000000005F1C: 0A8080FA FF015008
	v_mul_f32_dpp v65, v8, v65 row_newbcast:1 row_mask:0xf bank_mask:0xf// 000000005F24: 0A8282FA FF015108
	v_mul_f32_dpp v66, v8, v66 row_newbcast:2 row_mask:0xf bank_mask:0xf// 000000005F2C: 0A8484FA FF015208
	v_mul_f32_dpp v67, v8, v67 row_newbcast:3 row_mask:0xf bank_mask:0xf// 000000005F34: 0A8686FA FF015308
	v_mul_f32_dpp v68, v8, v68 row_newbcast:0 row_mask:0xf bank_mask:0xf// 000000005F3C: 0A8888FA FF015008
	v_mul_f32_dpp v69, v8, v69 row_newbcast:1 row_mask:0xf bank_mask:0xf// 000000005F44: 0A8A8AFA FF015108
	v_mul_f32_dpp v70, v8, v70 row_newbcast:2 row_mask:0xf bank_mask:0xf// 000000005F4C: 0A8C8CFA FF015208
	v_mul_f32_dpp v71, v8, v71 row_newbcast:3 row_mask:0xf bank_mask:0xf// 000000005F54: 0A8E8EFA FF015308
	v_mul_f32_dpp v72, v8, v72 row_newbcast:4 row_mask:0xf bank_mask:0xf// 000000005F5C: 0A9090FA FF015408
	v_mul_f32_dpp v73, v8, v73 row_newbcast:5 row_mask:0xf bank_mask:0xf// 000000005F64: 0A9292FA FF015508
	v_mul_f32_dpp v74, v8, v74 row_newbcast:6 row_mask:0xf bank_mask:0xf// 000000005F6C: 0A9494FA FF015608
	v_mul_f32_dpp v75, v8, v75 row_newbcast:7 row_mask:0xf bank_mask:0xf// 000000005F74: 0A9696FA FF015708
	v_mul_f32_dpp v76, v8, v76 row_newbcast:4 row_mask:0xf bank_mask:0xf// 000000005F7C: 0A9898FA FF015408
	v_mul_f32_dpp v77, v8, v77 row_newbcast:5 row_mask:0xf bank_mask:0xf// 000000005F84: 0A9A9AFA FF015508
	v_mul_f32_dpp v78, v8, v78 row_newbcast:6 row_mask:0xf bank_mask:0xf// 000000005F8C: 0A9C9CFA FF015608
	v_mul_f32_dpp v79, v8, v79 row_newbcast:7 row_mask:0xf bank_mask:0xf// 000000005F94: 0A9E9EFA FF015708
	v_mul_f32_dpp v80, v8, v80 row_newbcast:8 row_mask:0xf bank_mask:0xf// 000000005F9C: 0AA0A0FA FF015808
	v_mul_f32_dpp v81, v8, v81 row_newbcast:9 row_mask:0xf bank_mask:0xf// 000000005FA4: 0AA2A2FA FF015908
	v_mul_f32_dpp v82, v8, v82 row_newbcast:10 row_mask:0xf bank_mask:0xf// 000000005FAC: 0AA4A4FA FF015A08
	v_mul_f32_dpp v83, v8, v83 row_newbcast:11 row_mask:0xf bank_mask:0xf// 000000005FB4: 0AA6A6FA FF015B08
	v_mul_f32_dpp v84, v8, v84 row_newbcast:8 row_mask:0xf bank_mask:0xf// 000000005FBC: 0AA8A8FA FF015808
	v_mul_f32_dpp v85, v8, v85 row_newbcast:9 row_mask:0xf bank_mask:0xf// 000000005FC4: 0AAAAAFA FF015908
	v_mul_f32_dpp v86, v8, v86 row_newbcast:10 row_mask:0xf bank_mask:0xf// 000000005FCC: 0AACACFA FF015A08
	v_mul_f32_dpp v87, v8, v87 row_newbcast:11 row_mask:0xf bank_mask:0xf// 000000005FD4: 0AAEAEFA FF015B08
	v_mul_f32_dpp v88, v8, v88 row_newbcast:12 row_mask:0xf bank_mask:0xf// 000000005FDC: 0AB0B0FA FF015C08
	v_mul_f32_dpp v89, v8, v89 row_newbcast:13 row_mask:0xf bank_mask:0xf// 000000005FE4: 0AB2B2FA FF015D08
	v_mul_f32_dpp v90, v8, v90 row_newbcast:14 row_mask:0xf bank_mask:0xf// 000000005FEC: 0AB4B4FA FF015E08
	v_mul_f32_dpp v91, v8, v91 row_newbcast:15 row_mask:0xf bank_mask:0xf// 000000005FF4: 0AB6B6FA FF015F08
	v_mul_f32_dpp v92, v8, v92 row_newbcast:12 row_mask:0xf bank_mask:0xf// 000000005FFC: 0AB8B8FA FF015C08
	v_mul_f32_dpp v93, v8, v93 row_newbcast:13 row_mask:0xf bank_mask:0xf// 000000006004: 0ABABAFA FF015D08
	v_mul_f32_dpp v94, v8, v94 row_newbcast:14 row_mask:0xf bank_mask:0xf// 00000000600C: 0ABCBCFA FF015E08
	v_mul_f32_dpp v95, v8, v95 row_newbcast:15 row_mask:0xf bank_mask:0xf// 000000006014: 0ABEBEFA FF015F08
	v_mul_f32_dpp v96, v9, v96 row_newbcast:0 row_mask:0xf bank_mask:0xf// 00000000601C: 0AC0C0FA FF015009
	v_mul_f32_dpp v97, v9, v97 row_newbcast:1 row_mask:0xf bank_mask:0xf// 000000006024: 0AC2C2FA FF015109
	v_mul_f32_dpp v98, v9, v98 row_newbcast:2 row_mask:0xf bank_mask:0xf// 00000000602C: 0AC4C4FA FF015209
	v_mul_f32_dpp v99, v9, v99 row_newbcast:3 row_mask:0xf bank_mask:0xf// 000000006034: 0AC6C6FA FF015309
	v_mul_f32_dpp v100, v9, v100 row_newbcast:0 row_mask:0xf bank_mask:0xf// 00000000603C: 0AC8C8FA FF015009
	v_mul_f32_dpp v101, v9, v101 row_newbcast:1 row_mask:0xf bank_mask:0xf// 000000006044: 0ACACAFA FF015109
	v_mul_f32_dpp v102, v9, v102 row_newbcast:2 row_mask:0xf bank_mask:0xf// 00000000604C: 0ACCCCFA FF015209
	v_mul_f32_dpp v103, v9, v103 row_newbcast:3 row_mask:0xf bank_mask:0xf// 000000006054: 0ACECEFA FF015309
	s_waitcnt vmcnt(16)                                        // 00000000605C: BF8C4F70
	buffer_load_dwordx4 a[0:3], v46, s[12:15], 0 offen         // 000000006060: E05C1000 8083002E
	v_mul_f32_e64 v42, -v128, s6                               // 000000006068: D105002A 20000D80
	v_mul_f32_e64 v43, -v129, s6                               // 000000006070: D105002B 20000D81
	v_mul_f32_e64 v44, -v130, s6                               // 000000006078: D105002C 20000D82
	v_mul_f32_e64 v45, -v131, s6                               // 000000006080: D105002D 20000D83
	v_exp_f32_e32 v42, v42                                     // 000000006088: 7E54412A
	v_exp_f32_e32 v43, v43                                     // 00000000608C: 7E56412B
	v_exp_f32_e32 v44, v44                                     // 000000006090: 7E58412C
	v_exp_f32_e32 v45, v45                                     // 000000006094: 7E5A412D
	buffer_load_dwordx4 a[4:7], v47, s[12:15], 0 offen         // 000000006098: E05C1000 8083042F
	v_add_f32_e64 v42, v42, 1.0                                // 0000000060A0: D101002A 0001E52A
	v_add_f32_e64 v43, v43, 1.0                                // 0000000060A8: D101002B 0001E52B
	v_add_f32_e64 v44, v44, 1.0                                // 0000000060B0: D101002C 0001E52C
	v_add_f32_e64 v45, v45, 1.0                                // 0000000060B8: D101002D 0001E52D
	v_rcp_f32_e32 v42, v42                                     // 0000000060C0: 7E54452A
	v_rcp_f32_e32 v43, v43                                     // 0000000060C4: 7E56452B
	v_rcp_f32_e32 v44, v44                                     // 0000000060C8: 7E58452C
	v_rcp_f32_e32 v45, v45                                     // 0000000060CC: 7E5A452D
	v_pk_mul_f32 v[128:129], v[128:129], v[42:43]              // 0000000060D0: D3B14080 18025580
	v_pk_mul_f32 v[130:131], v[130:131], v[44:45]              // 0000000060D8: D3B14082 18025982
	v_pk_mul_f32 v[128:129], v[128:129], v[64:65]              // 0000000060E0: D3B14080 18028180
	v_pk_mul_f32 v[130:131], v[130:131], v[66:67]              // 0000000060E8: D3B14082 18028582
	buffer_load_dwordx4 a[8:11], v48, s[12:15], 0 offen        // 0000000060F0: E05C1000 80830830
	v_mul_f32_e64 v42, -v132, s6                               // 0000000060F8: D105002A 20000D84
	v_mul_f32_e64 v43, -v133, s6                               // 000000006100: D105002B 20000D85
	v_mul_f32_e64 v44, -v134, s6                               // 000000006108: D105002C 20000D86
	v_mul_f32_e64 v45, -v135, s6                               // 000000006110: D105002D 20000D87
	v_exp_f32_e32 v42, v42                                     // 000000006118: 7E54412A
	v_exp_f32_e32 v43, v43                                     // 00000000611C: 7E56412B
	v_exp_f32_e32 v44, v44                                     // 000000006120: 7E58412C
	v_exp_f32_e32 v45, v45                                     // 000000006124: 7E5A412D
	buffer_load_dwordx4 a[12:15], v49, s[12:15], 0 offen       // 000000006128: E05C1000 80830C31
	s_add_u32 s12, s78, s12                                    // 000000006130: 800C0C4E
	s_addc_u32 s13, 0, s13                                     // 000000006134: 820D0D80
	v_add_f32_e64 v42, v42, 1.0                                // 000000006138: D101002A 0001E52A
	v_add_f32_e64 v43, v43, 1.0                                // 000000006140: D101002B 0001E52B
	v_add_f32_e64 v44, v44, 1.0                                // 000000006148: D101002C 0001E52C
	v_add_f32_e64 v45, v45, 1.0                                // 000000006150: D101002D 0001E52D
	v_rcp_f32_e32 v42, v42                                     // 000000006158: 7E54452A
	v_rcp_f32_e32 v43, v43                                     // 00000000615C: 7E56452B
	v_rcp_f32_e32 v44, v44                                     // 000000006160: 7E58452C
	v_rcp_f32_e32 v45, v45                                     // 000000006164: 7E5A452D
	v_pk_mul_f32 v[132:133], v[132:133], v[42:43]              // 000000006168: D3B14084 18025584
	v_pk_mul_f32 v[134:135], v[134:135], v[44:45]              // 000000006170: D3B14086 18025986
	v_pk_mul_f32 v[132:133], v[132:133], v[68:69]              // 000000006178: D3B14084 18028984
	v_pk_mul_f32 v[134:135], v[134:135], v[70:71]              // 000000006180: D3B14086 18028D86
	s_waitcnt vmcnt(16)                                        // 000000006188: BF8C4F70
	buffer_load_dwordx4 a[16:19], v46, s[12:15], 0 offen       // 00000000618C: E05C1000 8083102E
	v_mul_f32_e64 v42, -v136, s6                               // 000000006194: D105002A 20000D88
	v_mul_f32_e64 v43, -v137, s6                               // 00000000619C: D105002B 20000D89
	v_mul_f32_e64 v44, -v138, s6                               // 0000000061A4: D105002C 20000D8A
	v_mul_f32_e64 v45, -v139, s6                               // 0000000061AC: D105002D 20000D8B
	v_exp_f32_e32 v42, v42                                     // 0000000061B4: 7E54412A
	v_exp_f32_e32 v43, v43                                     // 0000000061B8: 7E56412B
	v_exp_f32_e32 v44, v44                                     // 0000000061BC: 7E58412C
	v_exp_f32_e32 v45, v45                                     // 0000000061C0: 7E5A412D
	buffer_load_dwordx4 a[20:23], v47, s[12:15], 0 offen       // 0000000061C4: E05C1000 8083142F
	v_add_f32_e64 v42, v42, 1.0                                // 0000000061CC: D101002A 0001E52A
	v_add_f32_e64 v43, v43, 1.0                                // 0000000061D4: D101002B 0001E52B
	v_add_f32_e64 v44, v44, 1.0                                // 0000000061DC: D101002C 0001E52C
	v_add_f32_e64 v45, v45, 1.0                                // 0000000061E4: D101002D 0001E52D
	v_rcp_f32_e32 v42, v42                                     // 0000000061EC: 7E54452A
	v_rcp_f32_e32 v43, v43                                     // 0000000061F0: 7E56452B
	v_rcp_f32_e32 v44, v44                                     // 0000000061F4: 7E58452C
	v_rcp_f32_e32 v45, v45                                     // 0000000061F8: 7E5A452D
	v_pk_mul_f32 v[136:137], v[136:137], v[42:43]              // 0000000061FC: D3B14088 18025588
	v_pk_mul_f32 v[138:139], v[138:139], v[44:45]              // 000000006204: D3B1408A 1802598A
	v_pk_mul_f32 v[136:137], v[136:137], v[72:73]              // 00000000620C: D3B14088 18029188
	v_pk_mul_f32 v[138:139], v[138:139], v[74:75]              // 000000006214: D3B1408A 1802958A
	buffer_load_dwordx4 a[24:27], v48, s[12:15], 0 offen       // 00000000621C: E05C1000 80831830
	v_mul_f32_e64 v42, -v140, s6                               // 000000006224: D105002A 20000D8C
	v_mul_f32_e64 v43, -v141, s6                               // 00000000622C: D105002B 20000D8D
	v_mul_f32_e64 v44, -v142, s6                               // 000000006234: D105002C 20000D8E
	v_mul_f32_e64 v45, -v143, s6                               // 00000000623C: D105002D 20000D8F
	v_exp_f32_e32 v42, v42                                     // 000000006244: 7E54412A
	v_exp_f32_e32 v43, v43                                     // 000000006248: 7E56412B
	v_exp_f32_e32 v44, v44                                     // 00000000624C: 7E58412C
	v_exp_f32_e32 v45, v45                                     // 000000006250: 7E5A412D
	buffer_load_dwordx4 a[28:31], v49, s[12:15], 0 offen       // 000000006254: E05C1000 80831C31
	s_add_u32 s12, s78, s12                                    // 00000000625C: 800C0C4E
	s_addc_u32 s13, 0, s13                                     // 000000006260: 820D0D80
	v_add_f32_e64 v42, v42, 1.0                                // 000000006264: D101002A 0001E52A
	v_add_f32_e64 v43, v43, 1.0                                // 00000000626C: D101002B 0001E52B
	v_add_f32_e64 v44, v44, 1.0                                // 000000006274: D101002C 0001E52C
	v_add_f32_e64 v45, v45, 1.0                                // 00000000627C: D101002D 0001E52D
	v_rcp_f32_e32 v42, v42                                     // 000000006284: 7E54452A
	v_rcp_f32_e32 v43, v43                                     // 000000006288: 7E56452B
	v_rcp_f32_e32 v44, v44                                     // 00000000628C: 7E58452C
	v_rcp_f32_e32 v45, v45                                     // 000000006290: 7E5A452D
	v_pk_mul_f32 v[140:141], v[140:141], v[42:43]              // 000000006294: D3B1408C 1802558C
	v_pk_mul_f32 v[142:143], v[142:143], v[44:45]              // 00000000629C: D3B1408E 1802598E
	v_pk_mul_f32 v[140:141], v[140:141], v[76:77]              // 0000000062A4: D3B1408C 1802998C
	v_pk_mul_f32 v[142:143], v[142:143], v[78:79]              // 0000000062AC: D3B1408E 18029D8E
	s_waitcnt vmcnt(16)                                        // 0000000062B4: BF8C4F70
	buffer_load_dwordx4 a[32:35], v46, s[12:15], 0 offen       // 0000000062B8: E05C1000 8083202E
	v_mul_f32_e64 v42, -v144, s6                               // 0000000062C0: D105002A 20000D90
	v_mul_f32_e64 v43, -v145, s6                               // 0000000062C8: D105002B 20000D91
	v_mul_f32_e64 v44, -v146, s6                               // 0000000062D0: D105002C 20000D92
	v_mul_f32_e64 v45, -v147, s6                               // 0000000062D8: D105002D 20000D93
	v_exp_f32_e32 v42, v42                                     // 0000000062E0: 7E54412A
	v_exp_f32_e32 v43, v43                                     // 0000000062E4: 7E56412B
	v_exp_f32_e32 v44, v44                                     // 0000000062E8: 7E58412C
	v_exp_f32_e32 v45, v45                                     // 0000000062EC: 7E5A412D
	buffer_load_dwordx4 a[36:39], v47, s[12:15], 0 offen       // 0000000062F0: E05C1000 8083242F
	v_add_f32_e64 v42, v42, 1.0                                // 0000000062F8: D101002A 0001E52A
	v_add_f32_e64 v43, v43, 1.0                                // 000000006300: D101002B 0001E52B
	v_add_f32_e64 v44, v44, 1.0                                // 000000006308: D101002C 0001E52C
	v_add_f32_e64 v45, v45, 1.0                                // 000000006310: D101002D 0001E52D
	v_rcp_f32_e32 v42, v42                                     // 000000006318: 7E54452A
	v_rcp_f32_e32 v43, v43                                     // 00000000631C: 7E56452B
	v_rcp_f32_e32 v44, v44                                     // 000000006320: 7E58452C
	v_rcp_f32_e32 v45, v45                                     // 000000006324: 7E5A452D
	v_pk_mul_f32 v[144:145], v[144:145], v[42:43]              // 000000006328: D3B14090 18025590
	v_pk_mul_f32 v[146:147], v[146:147], v[44:45]              // 000000006330: D3B14092 18025992
	v_pk_mul_f32 v[144:145], v[144:145], v[80:81]              // 000000006338: D3B14090 1802A190
	v_pk_mul_f32 v[146:147], v[146:147], v[82:83]              // 000000006340: D3B14092 1802A592
	buffer_load_dwordx4 a[40:43], v48, s[12:15], 0 offen       // 000000006348: E05C1000 80832830
	v_mul_f32_e64 v42, -v148, s6                               // 000000006350: D105002A 20000D94
	v_mul_f32_e64 v43, -v149, s6                               // 000000006358: D105002B 20000D95
	v_mul_f32_e64 v44, -v150, s6                               // 000000006360: D105002C 20000D96
	v_mul_f32_e64 v45, -v151, s6                               // 000000006368: D105002D 20000D97
	v_exp_f32_e32 v42, v42                                     // 000000006370: 7E54412A
	v_exp_f32_e32 v43, v43                                     // 000000006374: 7E56412B
	v_exp_f32_e32 v44, v44                                     // 000000006378: 7E58412C
	v_exp_f32_e32 v45, v45                                     // 00000000637C: 7E5A412D
	buffer_load_dwordx4 a[44:47], v49, s[12:15], 0 offen       // 000000006380: E05C1000 80832C31
	s_add_u32 s12, s78, s12                                    // 000000006388: 800C0C4E
	s_addc_u32 s13, 0, s13                                     // 00000000638C: 820D0D80
	v_add_f32_e64 v42, v42, 1.0                                // 000000006390: D101002A 0001E52A
	v_add_f32_e64 v43, v43, 1.0                                // 000000006398: D101002B 0001E52B
	v_add_f32_e64 v44, v44, 1.0                                // 0000000063A0: D101002C 0001E52C
	v_add_f32_e64 v45, v45, 1.0                                // 0000000063A8: D101002D 0001E52D
	v_rcp_f32_e32 v42, v42                                     // 0000000063B0: 7E54452A
	v_rcp_f32_e32 v43, v43                                     // 0000000063B4: 7E56452B
	v_rcp_f32_e32 v44, v44                                     // 0000000063B8: 7E58452C
	v_rcp_f32_e32 v45, v45                                     // 0000000063BC: 7E5A452D
	v_pk_mul_f32 v[148:149], v[148:149], v[42:43]              // 0000000063C0: D3B14094 18025594
	v_pk_mul_f32 v[150:151], v[150:151], v[44:45]              // 0000000063C8: D3B14096 18025996
	v_pk_mul_f32 v[148:149], v[148:149], v[84:85]              // 0000000063D0: D3B14094 1802A994
	v_pk_mul_f32 v[150:151], v[150:151], v[86:87]              // 0000000063D8: D3B14096 1802AD96
	s_waitcnt vmcnt(16)                                        // 0000000063E0: BF8C4F70
	buffer_load_dwordx4 a[48:51], v46, s[12:15], 0 offen       // 0000000063E4: E05C1000 8083302E
	v_mul_f32_e64 v42, -v152, s6                               // 0000000063EC: D105002A 20000D98
	v_mul_f32_e64 v43, -v153, s6                               // 0000000063F4: D105002B 20000D99
	v_mul_f32_e64 v44, -v154, s6                               // 0000000063FC: D105002C 20000D9A
	v_mul_f32_e64 v45, -v155, s6                               // 000000006404: D105002D 20000D9B
	v_exp_f32_e32 v42, v42                                     // 00000000640C: 7E54412A
	v_exp_f32_e32 v43, v43                                     // 000000006410: 7E56412B
	v_exp_f32_e32 v44, v44                                     // 000000006414: 7E58412C
	v_exp_f32_e32 v45, v45                                     // 000000006418: 7E5A412D
	buffer_load_dwordx4 a[52:55], v47, s[12:15], 0 offen       // 00000000641C: E05C1000 8083342F
	v_add_f32_e64 v42, v42, 1.0                                // 000000006424: D101002A 0001E52A
	v_add_f32_e64 v43, v43, 1.0                                // 00000000642C: D101002B 0001E52B
	v_add_f32_e64 v44, v44, 1.0                                // 000000006434: D101002C 0001E52C
	v_add_f32_e64 v45, v45, 1.0                                // 00000000643C: D101002D 0001E52D
	v_rcp_f32_e32 v42, v42                                     // 000000006444: 7E54452A
	v_rcp_f32_e32 v43, v43                                     // 000000006448: 7E56452B
	v_rcp_f32_e32 v44, v44                                     // 00000000644C: 7E58452C
	v_rcp_f32_e32 v45, v45                                     // 000000006450: 7E5A452D
	v_pk_mul_f32 v[152:153], v[152:153], v[42:43]              // 000000006454: D3B14098 18025598
	v_pk_mul_f32 v[154:155], v[154:155], v[44:45]              // 00000000645C: D3B1409A 1802599A
	v_pk_mul_f32 v[152:153], v[152:153], v[88:89]              // 000000006464: D3B14098 1802B198
	v_pk_mul_f32 v[154:155], v[154:155], v[90:91]              // 00000000646C: D3B1409A 1802B59A
	buffer_load_dwordx4 a[56:59], v48, s[12:15], 0 offen       // 000000006474: E05C1000 80833830
	v_mul_f32_e64 v42, -v156, s6                               // 00000000647C: D105002A 20000D9C
	v_mul_f32_e64 v43, -v157, s6                               // 000000006484: D105002B 20000D9D
	v_mul_f32_e64 v44, -v158, s6                               // 00000000648C: D105002C 20000D9E
	v_mul_f32_e64 v45, -v159, s6                               // 000000006494: D105002D 20000D9F
	v_exp_f32_e32 v42, v42                                     // 00000000649C: 7E54412A
	v_exp_f32_e32 v43, v43                                     // 0000000064A0: 7E56412B
	v_exp_f32_e32 v44, v44                                     // 0000000064A4: 7E58412C
	v_exp_f32_e32 v45, v45                                     // 0000000064A8: 7E5A412D
	buffer_load_dwordx4 a[60:63], v49, s[12:15], 0 offen       // 0000000064AC: E05C1000 80833C31
	s_add_u32 s12, s78, s12                                    // 0000000064B4: 800C0C4E
	s_addc_u32 s13, 0, s13                                     // 0000000064B8: 820D0D80
	v_add_f32_e64 v42, v42, 1.0                                // 0000000064BC: D101002A 0001E52A
	v_add_f32_e64 v43, v43, 1.0                                // 0000000064C4: D101002B 0001E52B
	v_add_f32_e64 v44, v44, 1.0                                // 0000000064CC: D101002C 0001E52C
	v_add_f32_e64 v45, v45, 1.0                                // 0000000064D4: D101002D 0001E52D
	v_rcp_f32_e32 v42, v42                                     // 0000000064DC: 7E54452A
	v_rcp_f32_e32 v43, v43                                     // 0000000064E0: 7E56452B
	v_rcp_f32_e32 v44, v44                                     // 0000000064E4: 7E58452C
	v_rcp_f32_e32 v45, v45                                     // 0000000064E8: 7E5A452D
	v_pk_mul_f32 v[156:157], v[156:157], v[42:43]              // 0000000064EC: D3B1409C 1802559C
	v_pk_mul_f32 v[158:159], v[158:159], v[44:45]              // 0000000064F4: D3B1409E 1802599E
	v_pk_mul_f32 v[156:157], v[156:157], v[92:93]              // 0000000064FC: D3B1409C 1802B99C
	v_pk_mul_f32 v[158:159], v[158:159], v[94:95]              // 000000006504: D3B1409E 1802BD9E
	s_waitcnt vmcnt(16)                                        // 00000000650C: BF8C4F70
	buffer_load_dwordx4 a[64:67], v46, s[12:15], 0 offen       // 000000006510: E05C1000 8083402E
	v_mul_f32_e64 v42, -v160, s6                               // 000000006518: D105002A 20000DA0
	v_mul_f32_e64 v43, -v161, s6                               // 000000006520: D105002B 20000DA1
	v_mul_f32_e64 v44, -v162, s6                               // 000000006528: D105002C 20000DA2
	v_mul_f32_e64 v45, -v163, s6                               // 000000006530: D105002D 20000DA3
	v_exp_f32_e32 v42, v42                                     // 000000006538: 7E54412A
	v_exp_f32_e32 v43, v43                                     // 00000000653C: 7E56412B
	v_exp_f32_e32 v44, v44                                     // 000000006540: 7E58412C
	v_exp_f32_e32 v45, v45                                     // 000000006544: 7E5A412D
	buffer_load_dwordx4 a[68:71], v47, s[12:15], 0 offen       // 000000006548: E05C1000 8083442F
	v_add_f32_e64 v42, v42, 1.0                                // 000000006550: D101002A 0001E52A
	v_add_f32_e64 v43, v43, 1.0                                // 000000006558: D101002B 0001E52B
	v_add_f32_e64 v44, v44, 1.0                                // 000000006560: D101002C 0001E52C
	v_add_f32_e64 v45, v45, 1.0                                // 000000006568: D101002D 0001E52D
	v_rcp_f32_e32 v42, v42                                     // 000000006570: 7E54452A
	v_rcp_f32_e32 v43, v43                                     // 000000006574: 7E56452B
	v_rcp_f32_e32 v44, v44                                     // 000000006578: 7E58452C
	v_rcp_f32_e32 v45, v45                                     // 00000000657C: 7E5A452D
	v_pk_mul_f32 v[160:161], v[160:161], v[42:43]              // 000000006580: D3B140A0 180255A0
	v_pk_mul_f32 v[162:163], v[162:163], v[44:45]              // 000000006588: D3B140A2 180259A2
	v_pk_mul_f32 v[160:161], v[160:161], v[96:97]              // 000000006590: D3B140A0 1802C1A0
	v_pk_mul_f32 v[162:163], v[162:163], v[98:99]              // 000000006598: D3B140A2 1802C5A2
	buffer_load_dwordx4 a[72:75], v48, s[12:15], 0 offen       // 0000000065A0: E05C1000 80834830
	v_mul_f32_e64 v42, -v164, s6                               // 0000000065A8: D105002A 20000DA4
	v_mul_f32_e64 v43, -v165, s6                               // 0000000065B0: D105002B 20000DA5
	v_mul_f32_e64 v44, -v166, s6                               // 0000000065B8: D105002C 20000DA6
	v_mul_f32_e64 v45, -v167, s6                               // 0000000065C0: D105002D 20000DA7
	v_exp_f32_e32 v42, v42                                     // 0000000065C8: 7E54412A
	v_exp_f32_e32 v43, v43                                     // 0000000065CC: 7E56412B
	v_exp_f32_e32 v44, v44                                     // 0000000065D0: 7E58412C
	v_exp_f32_e32 v45, v45                                     // 0000000065D4: 7E5A412D
	buffer_load_dwordx4 a[76:79], v49, s[12:15], 0 offen       // 0000000065D8: E05C1000 80834C31
	v_add_f32_e64 v42, v42, 1.0                                // 0000000065E0: D101002A 0001E52A
	v_add_f32_e64 v43, v43, 1.0                                // 0000000065E8: D101002B 0001E52B
	v_add_f32_e64 v44, v44, 1.0                                // 0000000065F0: D101002C 0001E52C
	v_add_f32_e64 v45, v45, 1.0                                // 0000000065F8: D101002D 0001E52D
	v_rcp_f32_e32 v42, v42                                     // 000000006600: 7E54452A
	v_rcp_f32_e32 v43, v43                                     // 000000006604: 7E56452B
	v_rcp_f32_e32 v44, v44                                     // 000000006608: 7E58452C
	v_rcp_f32_e32 v45, v45                                     // 00000000660C: 7E5A452D
	v_pk_mul_f32 v[164:165], v[164:165], v[42:43]              // 000000006610: D3B140A4 180255A4
	v_pk_mul_f32 v[166:167], v[166:167], v[44:45]              // 000000006618: D3B140A6 180259A6
	v_pk_mul_f32 v[164:165], v[164:165], v[100:101]            // 000000006620: D3B140A4 1802C9A4
	v_pk_mul_f32 v[166:167], v[166:167], v[102:103]            // 000000006628: D3B140A6 1802CDA6
	v_mul_f32_dpp v128, v18, v128 row_newbcast:0 row_mask:0xf bank_mask:0xf// 000000006630: 0B0100FA FF015012
	v_mul_f32_dpp v129, v18, v129 row_newbcast:1 row_mask:0xf bank_mask:0xf// 000000006638: 0B0302FA FF015112
	v_mul_f32_dpp v130, v18, v130 row_newbcast:2 row_mask:0xf bank_mask:0xf// 000000006640: 0B0504FA FF015212
	v_mul_f32_dpp v131, v18, v131 row_newbcast:3 row_mask:0xf bank_mask:0xf// 000000006648: 0B0706FA FF015312
	v_mul_f32_dpp v132, v18, v132 row_newbcast:0 row_mask:0xf bank_mask:0xf// 000000006650: 0B0908FA FF015012
	v_mul_f32_dpp v133, v18, v133 row_newbcast:1 row_mask:0xf bank_mask:0xf// 000000006658: 0B0B0AFA FF015112
	v_mul_f32_dpp v134, v18, v134 row_newbcast:2 row_mask:0xf bank_mask:0xf// 000000006660: 0B0D0CFA FF015212
	v_mul_f32_dpp v135, v18, v135 row_newbcast:3 row_mask:0xf bank_mask:0xf// 000000006668: 0B0F0EFA FF015312
	v_mul_f32_dpp v136, v18, v136 row_newbcast:4 row_mask:0xf bank_mask:0xf// 000000006670: 0B1110FA FF015412
	v_mul_f32_dpp v137, v18, v137 row_newbcast:5 row_mask:0xf bank_mask:0xf// 000000006678: 0B1312FA FF015512
	v_mul_f32_dpp v138, v18, v138 row_newbcast:6 row_mask:0xf bank_mask:0xf// 000000006680: 0B1514FA FF015612
	v_mul_f32_dpp v139, v18, v139 row_newbcast:7 row_mask:0xf bank_mask:0xf// 000000006688: 0B1716FA FF015712
	v_mul_f32_dpp v140, v18, v140 row_newbcast:4 row_mask:0xf bank_mask:0xf// 000000006690: 0B1918FA FF015412
	v_mul_f32_dpp v141, v18, v141 row_newbcast:5 row_mask:0xf bank_mask:0xf// 000000006698: 0B1B1AFA FF015512
	v_mul_f32_dpp v142, v18, v142 row_newbcast:6 row_mask:0xf bank_mask:0xf// 0000000066A0: 0B1D1CFA FF015612
	v_mul_f32_dpp v143, v18, v143 row_newbcast:7 row_mask:0xf bank_mask:0xf// 0000000066A8: 0B1F1EFA FF015712
	v_mul_f32_dpp v144, v18, v144 row_newbcast:8 row_mask:0xf bank_mask:0xf// 0000000066B0: 0B2120FA FF015812
	v_mul_f32_dpp v145, v18, v145 row_newbcast:9 row_mask:0xf bank_mask:0xf// 0000000066B8: 0B2322FA FF015912
	v_mul_f32_dpp v146, v18, v146 row_newbcast:10 row_mask:0xf bank_mask:0xf// 0000000066C0: 0B2524FA FF015A12
	v_mul_f32_dpp v147, v18, v147 row_newbcast:11 row_mask:0xf bank_mask:0xf// 0000000066C8: 0B2726FA FF015B12
	v_mul_f32_dpp v148, v18, v148 row_newbcast:8 row_mask:0xf bank_mask:0xf// 0000000066D0: 0B2928FA FF015812
	v_mul_f32_dpp v149, v18, v149 row_newbcast:9 row_mask:0xf bank_mask:0xf// 0000000066D8: 0B2B2AFA FF015912
	v_mul_f32_dpp v150, v18, v150 row_newbcast:10 row_mask:0xf bank_mask:0xf// 0000000066E0: 0B2D2CFA FF015A12
	v_mul_f32_dpp v151, v18, v151 row_newbcast:11 row_mask:0xf bank_mask:0xf// 0000000066E8: 0B2F2EFA FF015B12
	v_mul_f32_dpp v152, v18, v152 row_newbcast:12 row_mask:0xf bank_mask:0xf// 0000000066F0: 0B3130FA FF015C12
	v_mul_f32_dpp v153, v18, v153 row_newbcast:13 row_mask:0xf bank_mask:0xf// 0000000066F8: 0B3332FA FF015D12
	v_mul_f32_dpp v154, v18, v154 row_newbcast:14 row_mask:0xf bank_mask:0xf// 000000006700: 0B3534FA FF015E12
	v_mul_f32_dpp v155, v18, v155 row_newbcast:15 row_mask:0xf bank_mask:0xf// 000000006708: 0B3736FA FF015F12
	v_mul_f32_dpp v156, v18, v156 row_newbcast:12 row_mask:0xf bank_mask:0xf// 000000006710: 0B3938FA FF015C12
	v_mul_f32_dpp v157, v18, v157 row_newbcast:13 row_mask:0xf bank_mask:0xf// 000000006718: 0B3B3AFA FF015D12
	v_mul_f32_dpp v158, v18, v158 row_newbcast:14 row_mask:0xf bank_mask:0xf// 000000006720: 0B3D3CFA FF015E12
	v_mul_f32_dpp v159, v18, v159 row_newbcast:15 row_mask:0xf bank_mask:0xf// 000000006728: 0B3F3EFA FF015F12
	v_mul_f32_dpp v160, v19, v160 row_newbcast:0 row_mask:0xf bank_mask:0xf// 000000006730: 0B4140FA FF015013
	v_mul_f32_dpp v161, v19, v161 row_newbcast:1 row_mask:0xf bank_mask:0xf// 000000006738: 0B4342FA FF015113
	v_mul_f32_dpp v162, v19, v162 row_newbcast:2 row_mask:0xf bank_mask:0xf// 000000006740: 0B4544FA FF015213
	v_mul_f32_dpp v163, v19, v163 row_newbcast:3 row_mask:0xf bank_mask:0xf// 000000006748: 0B4746FA FF015313
	v_mul_f32_dpp v164, v19, v164 row_newbcast:0 row_mask:0xf bank_mask:0xf// 000000006750: 0B4948FA FF015013
	v_mul_f32_dpp v165, v19, v165 row_newbcast:1 row_mask:0xf bank_mask:0xf// 000000006758: 0B4B4AFA FF015113
	v_mul_f32_dpp v166, v19, v166 row_newbcast:2 row_mask:0xf bank_mask:0xf// 000000006760: 0B4D4CFA FF015213
	v_mul_f32_dpp v167, v19, v167 row_newbcast:3 row_mask:0xf bank_mask:0xf// 000000006768: 0B4F4EFA FF015313
	v_lshlrev_b32_e32 v42, 2, v0                               // 000000006770: 24540082
	s_mul_i32 s60, s82, s71                                    // 000000006774: 923C4752
	v_add_u32_e64 v80, v42, s60                                // 000000006778: D1340050 0000792A
	v_mov_b32_e32 v81, 0                                       // 000000006780: 7EA20280
	s_mul_i32 s60, s83, s71                                    // 000000006784: 923C4753
	v_add_u32_e64 v82, v42, s60                                // 000000006788: D1340052 0000792A
	v_mov_b32_e32 v83, 0                                       // 000000006790: 7EA60280
	s_mul_i32 s60, s84, s71                                    // 000000006794: 923C4754
	v_add_u32_e64 v84, v42, s60                                // 000000006798: D1340054 0000792A
	v_mov_b32_e32 v85, 0                                       // 0000000067A0: 7EAA0280
	s_mul_i32 s60, s85, s71                                    // 0000000067A4: 923C4755
	v_add_u32_e64 v86, v42, s60                                // 0000000067A8: D1340056 0000792A
	v_mov_b32_e32 v87, 0                                       // 0000000067B0: 7EAE0280
	s_mul_i32 s60, s86, s71                                    // 0000000067B4: 923C4756
	v_add_u32_e64 v88, v42, s60                                // 0000000067B8: D1340058 0000792A
	v_mov_b32_e32 v89, 0                                       // 0000000067C0: 7EB20280
	s_mul_i32 s60, s87, s71                                    // 0000000067C4: 923C4757
	v_add_u32_e64 v90, v42, s60                                // 0000000067C8: D134005A 0000792A
	v_mov_b32_e32 v91, 0                                       // 0000000067D0: 7EB60280
	s_mul_i32 s60, s88, s71                                    // 0000000067D4: 923C4758
	v_add_u32_e64 v92, v42, s60                                // 0000000067D8: D134005C 0000792A
	v_mov_b32_e32 v93, 0                                       // 0000000067E0: 7EBA0280
	s_mul_i32 s60, s89, s71                                    // 0000000067E4: 923C4759
	v_add_u32_e64 v94, v42, s60                                // 0000000067E8: D134005E 0000792A
	v_mov_b32_e32 v95, 0                                       // 0000000067F0: 7EBE0280
	buffer_load_dword v12, v5, s[16:19], 0 offen               // 0000000067F4: E0501000 80040C05
	v_mov_b32_e32 v22, 0x358637bd                              // 0000000067FC: 7E2C02FF 358637BD
	v_mov_b32_e32 v23, 0x358637bd                              // 000000006804: 7E2E02FF 358637BD
	v_max3_f32 v22, |v128|, |v129|, v22                        // 00000000680C: D1D30316 045B0380
	v_max3_f32 v22, |v130|, |v131|, v22                        // 000000006814: D1D30316 045B0782
	v_max3_f32 v23, |v132|, |v133|, v23                        // 00000000681C: D1D30317 045F0B84
	v_max3_f32 v23, |v134|, |v135|, v23                        // 000000006824: D1D30317 045F0F86
	v_max3_f32 v22, |v136|, |v137|, v22                        // 00000000682C: D1D30316 045B1388
	v_max3_f32 v22, |v138|, |v139|, v22                        // 000000006834: D1D30316 045B178A
	v_max3_f32 v23, |v140|, |v141|, v23                        // 00000000683C: D1D30317 045F1B8C
	v_max3_f32 v23, |v142|, |v143|, v23                        // 000000006844: D1D30317 045F1F8E
	v_max3_f32 v22, |v144|, |v145|, v22                        // 00000000684C: D1D30316 045B2390
	v_max3_f32 v22, |v146|, |v147|, v22                        // 000000006854: D1D30316 045B2792
	v_max3_f32 v23, |v148|, |v149|, v23                        // 00000000685C: D1D30317 045F2B94
	v_max3_f32 v23, |v150|, |v151|, v23                        // 000000006864: D1D30317 045F2F96
	v_max3_f32 v22, |v152|, |v153|, v22                        // 00000000686C: D1D30316 045B3398
	v_max3_f32 v22, |v154|, |v155|, v22                        // 000000006874: D1D30316 045B379A
	v_max3_f32 v23, |v156|, |v157|, v23                        // 00000000687C: D1D30317 045F3B9C
	v_max3_f32 v23, |v158|, |v159|, v23                        // 000000006884: D1D30317 045F3F9E
	v_max3_f32 v22, |v160|, |v161|, v22                        // 00000000688C: D1D30316 045B43A0
	v_max3_f32 v22, |v162|, |v163|, v22                        // 000000006894: D1D30316 045B47A2
	v_max3_f32 v23, |v164|, |v165|, v23                        // 00000000689C: D1D30317 045F4BA4
	v_max3_f32 v23, |v166|, |v167|, v23                        // 0000000068A4: D1D30317 045F4FA6
	v_lshlrev_b32_e32 v42, 3, v0                               // 0000000068AC: 24540083
	s_mul_i32 s60, 0x200, s5                                   // 0000000068B0: 923C05FF 00000200
	v_add_u32_e32 v42, s60, v42                                // 0000000068B8: 6854543C
	ds_write_b64 v42, v[22:23]                                 // 0000000068BC: D89A0000 0000162A
	s_waitcnt lgkmcnt(0)                                       // 0000000068C4: BF8CC07F
	s_barrier                                                  // 0000000068C8: BF8A0000
	v_and_b32_e32 v42, 15, v0                                  // 0000000068CC: 2654008F
	v_lshlrev_b32_e32 v42, 3, v42                              // 0000000068D0: 24545483
	ds_read_b64 v[96:97], v42                                  // 0000000068D4: D8EC0000 6000002A
	ds_read_b64 v[98:99], v42 offset:128                       // 0000000068DC: D8EC0080 6200002A
	ds_read_b64 v[100:101], v42 offset:256                     // 0000000068E4: D8EC0100 6400002A
	ds_read_b64 v[102:103], v42 offset:384                     // 0000000068EC: D8EC0180 6600002A
	ds_read_b64 v[104:105], v42 offset:512                     // 0000000068F4: D8EC0200 6800002A
	ds_read_b64 v[106:107], v42 offset:640                     // 0000000068FC: D8EC0280 6A00002A
	ds_read_b64 v[108:109], v42 offset:768                     // 000000006904: D8EC0300 6C00002A
	ds_read_b64 v[110:111], v42 offset:896                     // 00000000690C: D8EC0380 6E00002A
	ds_read_b64 v[112:113], v42 offset:1024                    // 000000006914: D8EC0400 7000002A
	ds_read_b64 v[114:115], v42 offset:1152                    // 00000000691C: D8EC0480 7200002A
	ds_read_b64 v[116:117], v42 offset:1280                    // 000000006924: D8EC0500 7400002A
	ds_read_b64 v[118:119], v42 offset:1408                    // 00000000692C: D8EC0580 7600002A
	ds_read_b64 v[120:121], v42 offset:1536                    // 000000006934: D8EC0600 7800002A
	ds_read_b64 v[122:123], v42 offset:1664                    // 00000000693C: D8EC0680 7A00002A
	ds_read_b64 v[124:125], v42 offset:1792                    // 000000006944: D8EC0700 7C00002A
	ds_read_b64 v[126:127], v42 offset:1920                    // 00000000694C: D8EC0780 7E00002A
	s_waitcnt lgkmcnt(0)                                       // 000000006954: BF8CC07F
	v_max3_f32 v22, |v96|, |v98|, v22                          // 000000006958: D1D30316 045AC560
	v_max3_f32 v23, |v97|, |v99|, v23                          // 000000006960: D1D30317 045EC761
	v_max3_f32 v22, |v100|, |v102|, v22                        // 000000006968: D1D30316 045ACD64
	v_max3_f32 v23, |v101|, |v103|, v23                        // 000000006970: D1D30317 045ECF65
	v_max3_f32 v22, |v104|, |v106|, v22                        // 000000006978: D1D30316 045AD568
	v_max3_f32 v23, |v105|, |v107|, v23                        // 000000006980: D1D30317 045ED769
	v_max3_f32 v22, |v108|, |v110|, v22                        // 000000006988: D1D30316 045ADD6C
	v_max3_f32 v23, |v109|, |v111|, v23                        // 000000006990: D1D30317 045EDF6D
	v_max3_f32 v22, |v112|, |v114|, v22                        // 000000006998: D1D30316 045AE570
	v_max3_f32 v23, |v113|, |v115|, v23                        // 0000000069A0: D1D30317 045EE771
	v_max3_f32 v22, |v116|, |v118|, v22                        // 0000000069A8: D1D30316 045AED74
	v_max3_f32 v23, |v117|, |v119|, v23                        // 0000000069B0: D1D30317 045EEF75
	v_max3_f32 v22, |v120|, |v122|, v22                        // 0000000069B8: D1D30316 045AF578
	v_max3_f32 v23, |v121|, |v123|, v23                        // 0000000069C0: D1D30317 045EF779
	v_max3_f32 v22, |v124|, |v126|, v22                        // 0000000069C8: D1D30316 045AFD7C
	v_max3_f32 v23, |v125|, |v127|, v23                        // 0000000069D0: D1D30317 045EFF7D
	v_rcp_f32_e32 v22, v22                                     // 0000000069D8: 7E2C4516
	v_rcp_f32_e32 v23, v23                                     // 0000000069DC: 7E2E4517
	v_mov_b32_e32 v42, 0x43700000                              // 0000000069E0: 7E5402FF 43700000
	v_mul_f32_e32 v22, v42, v22                                // 0000000069E8: 0A2C2D2A
	v_mul_f32_e32 v23, v42, v23                                // 0000000069EC: 0A2E2F2A
	v_mul_f32_e32 v128, v22, v128                              // 0000000069F0: 0B010116
	v_mul_f32_e32 v129, v22, v129                              // 0000000069F4: 0B030316
	v_mul_f32_e32 v130, v22, v130                              // 0000000069F8: 0B050516
	v_mul_f32_e32 v131, v22, v131                              // 0000000069FC: 0B070716
	v_cvt_pk_fp8_f32 v128, v128, v129                          // 000000006A00: D2A20080 00030380
	v_cvt_pk_fp8_f32 v128, v130, v131 op_sel:[0,0,1]           // 000000006A08: D2A24080 00030782
	v_mul_f32_e32 v132, v23, v132                              // 000000006A10: 0B090917
	v_mul_f32_e32 v133, v23, v133                              // 000000006A14: 0B0B0B17
	v_mul_f32_e32 v134, v23, v134                              // 000000006A18: 0B0D0D17
	v_mul_f32_e32 v135, v23, v135                              // 000000006A1C: 0B0F0F17
	v_cvt_pk_fp8_f32 v129, v132, v133                          // 000000006A20: D2A20081 00030B84
	v_cvt_pk_fp8_f32 v129, v134, v135 op_sel:[0,0,1]           // 000000006A28: D2A24081 00030F86
	v_mul_f32_e32 v136, v22, v136                              // 000000006A30: 0B111116
	v_mul_f32_e32 v137, v22, v137                              // 000000006A34: 0B131316
	v_mul_f32_e32 v138, v22, v138                              // 000000006A38: 0B151516
	v_mul_f32_e32 v139, v22, v139                              // 000000006A3C: 0B171716
	v_cvt_pk_fp8_f32 v130, v136, v137                          // 000000006A40: D2A20082 00031388
	v_cvt_pk_fp8_f32 v130, v138, v139 op_sel:[0,0,1]           // 000000006A48: D2A24082 0003178A
	v_mul_f32_e32 v140, v23, v140                              // 000000006A50: 0B191917
	v_mul_f32_e32 v141, v23, v141                              // 000000006A54: 0B1B1B17
	v_mul_f32_e32 v142, v23, v142                              // 000000006A58: 0B1D1D17
	v_mul_f32_e32 v143, v23, v143                              // 000000006A5C: 0B1F1F17
	v_cvt_pk_fp8_f32 v131, v140, v141                          // 000000006A60: D2A20083 00031B8C
	v_cvt_pk_fp8_f32 v131, v142, v143 op_sel:[0,0,1]           // 000000006A68: D2A24083 00031F8E
	v_mul_f32_e32 v144, v22, v144                              // 000000006A70: 0B212116
	v_mul_f32_e32 v145, v22, v145                              // 000000006A74: 0B232316
	v_mul_f32_e32 v146, v22, v146                              // 000000006A78: 0B252516
	v_mul_f32_e32 v147, v22, v147                              // 000000006A7C: 0B272716
	v_cvt_pk_fp8_f32 v132, v144, v145                          // 000000006A80: D2A20084 00032390
	v_cvt_pk_fp8_f32 v132, v146, v147 op_sel:[0,0,1]           // 000000006A88: D2A24084 00032792
	v_mul_f32_e32 v148, v23, v148                              // 000000006A90: 0B292917
	v_mul_f32_e32 v149, v23, v149                              // 000000006A94: 0B2B2B17
	v_mul_f32_e32 v150, v23, v150                              // 000000006A98: 0B2D2D17
	v_mul_f32_e32 v151, v23, v151                              // 000000006A9C: 0B2F2F17
	v_cvt_pk_fp8_f32 v133, v148, v149                          // 000000006AA0: D2A20085 00032B94
	v_cvt_pk_fp8_f32 v133, v150, v151 op_sel:[0,0,1]           // 000000006AA8: D2A24085 00032F96
	v_mul_f32_e32 v152, v22, v152                              // 000000006AB0: 0B313116
	v_mul_f32_e32 v153, v22, v153                              // 000000006AB4: 0B333316
	v_mul_f32_e32 v154, v22, v154                              // 000000006AB8: 0B353516
	v_mul_f32_e32 v155, v22, v155                              // 000000006ABC: 0B373716
	v_cvt_pk_fp8_f32 v134, v152, v153                          // 000000006AC0: D2A20086 00033398
	v_cvt_pk_fp8_f32 v134, v154, v155 op_sel:[0,0,1]           // 000000006AC8: D2A24086 0003379A
	v_mul_f32_e32 v156, v23, v156                              // 000000006AD0: 0B393917
	v_mul_f32_e32 v157, v23, v157                              // 000000006AD4: 0B3B3B17
	v_mul_f32_e32 v158, v23, v158                              // 000000006AD8: 0B3D3D17
	v_mul_f32_e32 v159, v23, v159                              // 000000006ADC: 0B3F3F17
	v_cvt_pk_fp8_f32 v135, v156, v157                          // 000000006AE0: D2A20087 00033B9C
	v_cvt_pk_fp8_f32 v135, v158, v159 op_sel:[0,0,1]           // 000000006AE8: D2A24087 00033F9E
	v_mul_f32_e32 v160, v22, v160                              // 000000006AF0: 0B414116
	v_mul_f32_e32 v161, v22, v161                              // 000000006AF4: 0B434316
	v_mul_f32_e32 v162, v22, v162                              // 000000006AF8: 0B454516
	v_mul_f32_e32 v163, v22, v163                              // 000000006AFC: 0B474716
	v_cvt_pk_fp8_f32 v136, v160, v161                          // 000000006B00: D2A20088 000343A0
	v_cvt_pk_fp8_f32 v136, v162, v163 op_sel:[0,0,1]           // 000000006B08: D2A24088 000347A2
	v_mul_f32_e32 v164, v23, v164                              // 000000006B10: 0B494917
	v_mul_f32_e32 v165, v23, v165                              // 000000006B14: 0B4B4B17
	v_mul_f32_e32 v166, v23, v166                              // 000000006B18: 0B4D4D17
	v_mul_f32_e32 v167, v23, v167                              // 000000006B1C: 0B4F4F17
	v_cvt_pk_fp8_f32 v137, v164, v165                          // 000000006B20: D2A20089 00034BA4
	v_cvt_pk_fp8_f32 v137, v166, v167 op_sel:[0,0,1]           // 000000006B28: D2A24089 00034FA6
	v_rcp_f32_e32 v24, v22                                     // 000000006B30: 7E304516
	v_rcp_f32_e32 v25, v23                                     // 000000006B34: 7E324517
	v_lshrrev_b32_e32 v42, 5, v0                               // 000000006B38: 20540085
	v_lshlrev_b32_e32 v43, 5, v42                              // 000000006B3C: 24565485
	v_and_b32_e32 v42, 31, v0                                  // 000000006B40: 2654009F
	v_lshrrev_b32_e32 v44, 4, v42                              // 000000006B44: 20585484
	v_add_u32_e32 v43, v44, v43                                // 000000006B48: 6856572C
	v_and_b32_e32 v42, 15, v0                                  // 000000006B4C: 2654008F
	v_lshlrev_b32_e32 v42, 1, v42                              // 000000006B50: 24545481
	v_add_u32_e32 v43, v42, v43                                // 000000006B54: 6856572A
	v_lshlrev_b32_e32 v42, 2, v43                              // 000000006B58: 24545682
	s_mul_i32 s60, 0x100, s5                                   // 000000006B5C: 923C05FF 00000100
	v_add_u32_e64 v42, v42, s60                                // 000000006B64: D134002A 0000792A
	ds_write_b32 v42, v128 offset:2048                         // 000000006B6C: D81A0800 0000802A
	ds_write_b32 v42, v129 offset:7168                         // 000000006B74: D81A1C00 0000812A
	ds_write_b32 v42, v130 offset:3072                         // 000000006B7C: D81A0C00 0000822A
	ds_write_b32 v42, v131 offset:8192                         // 000000006B84: D81A2000 0000832A
	ds_write_b32 v42, v132 offset:4096                         // 000000006B8C: D81A1000 0000842A
	ds_write_b32 v42, v133 offset:9216                         // 000000006B94: D81A2400 0000852A
	ds_write_b32 v42, v134 offset:5120                         // 000000006B9C: D81A1400 0000862A
	ds_write_b32 v42, v135 offset:10240                        // 000000006BA4: D81A2800 0000872A
	ds_write_b32 v42, v136 offset:6144                         // 000000006BAC: D81A1800 0000882A
	ds_write_b32 v42, v137 offset:11264                        // 000000006BB4: D81A2C00 0000892A
	s_waitcnt lgkmcnt(0)                                       // 000000006BBC: BF8CC07F
	s_barrier                                                  // 000000006BC0: BF8A0000
	v_lshrrev_b32_e32 v42, 4, v0                               // 000000006BC4: 20540084
	v_lshlrev_b32_e32 v43, 6, v42                              // 000000006BC8: 24565486
	v_and_b32_e32 v42, 15, v0                                  // 000000006BCC: 2654008F
	v_lshlrev_b32_e32 v42, 1, v42                              // 000000006BD0: 24545481
	v_add_u32_e32 v43, v42, v43                                // 000000006BD4: 6856572A
	v_lshlrev_b32_e32 v42, 2, v43                              // 000000006BD8: 24545682
	ds_read_b64 v[128:129], v42 offset:2048                    // 000000006BDC: D8EC0800 8000002A
	ds_read_b64 v[130:131], v42 offset:2176                    // 000000006BE4: D8EC0880 8200002A
	ds_read_b64 v[132:133], v42 offset:3072                    // 000000006BEC: D8EC0C00 8400002A
	ds_read_b64 v[134:135], v42 offset:3200                    // 000000006BF4: D8EC0C80 8600002A
	ds_read_b64 v[136:137], v42 offset:4096                    // 000000006BFC: D8EC1000 8800002A
	ds_read_b64 v[138:139], v42 offset:4224                    // 000000006C04: D8EC1080 8A00002A
	ds_read_b64 v[140:141], v42 offset:5120                    // 000000006C0C: D8EC1400 8C00002A
	ds_read_b64 v[142:143], v42 offset:5248                    // 000000006C14: D8EC1480 8E00002A
	ds_read_b64 v[144:145], v42 offset:6144                    // 000000006C1C: D8EC1800 9000002A
	ds_read_b64 v[146:147], v42 offset:6272                    // 000000006C24: D8EC1880 9200002A
	ds_read_b64 v[148:149], v42 offset:7168                    // 000000006C2C: D8EC1C00 9400002A
	ds_read_b64 v[150:151], v42 offset:7296                    // 000000006C34: D8EC1C80 9600002A
	ds_read_b64 v[152:153], v42 offset:8192                    // 000000006C3C: D8EC2000 9800002A
	ds_read_b64 v[154:155], v42 offset:8320                    // 000000006C44: D8EC2080 9A00002A
	ds_read_b64 v[156:157], v42 offset:9216                    // 000000006C4C: D8EC2400 9C00002A
	ds_read_b64 v[158:159], v42 offset:9344                    // 000000006C54: D8EC2480 9E00002A
	ds_read_b64 v[160:161], v42 offset:10240                   // 000000006C5C: D8EC2800 A000002A
	ds_read_b64 v[162:163], v42 offset:10368                   // 000000006C64: D8EC2880 A200002A
	ds_read_b64 v[164:165], v42 offset:11264                   // 000000006C6C: D8EC2C00 A400002A
	ds_read_b64 v[166:167], v42 offset:11392                   // 000000006C74: D8EC2C80 A600002A
	s_add_u32 s12, s56, s12                                    // 000000006C7C: 800C0C38
	s_addc_u32 s13, 0, s13                                     // 000000006C80: 820D0D80
	s_add_u32 s16, s79, s16                                    // 000000006C84: 8010104F
	s_addc_u32 s17, 0, s17                                     // 000000006C88: 82111180
	s_mov_b32 s80, 0                                           // 000000006C8C: BED00080
	s_waitcnt vmcnt(0) expcnt(0) lgkmcnt(0)                    // 000000006C90: BF8C0000

0000000000006c94 <label_0FA5>:
	s_waitcnt vmcnt(33)                                        // 000000006C94: BF8C8F71
	s_barrier                                                  // 000000006C98: BF8A0000
	v_mfma_f32_16x16x32_fp8_fp8 v[168:171], a[0:1], v[128:129], 0// 000000006C9C: D3F300A8 0A030100
	v_mfma_f32_16x16x32_fp8_fp8 v[168:171], a[2:3], v[130:131], v[168:171]// 000000006CA4: D3F300A8 0EA30502
	buffer_load_dwordx4 a[80:83], v46, s[12:15], 0 offen       // 000000006CAC: E05C1000 8083502E
	v_mfma_f32_16x16x32_fp8_fp8 v[172:175], a[0:1], v[148:149], 0// 000000006CB4: D3F300AC 0A032900
	v_mfma_f32_16x16x32_fp8_fp8 v[172:175], a[2:3], v[150:151], v[172:175]// 000000006CBC: D3F300AC 0EB32D02
	v_mfma_f32_16x16x32_fp8_fp8 v[176:179], a[4:5], v[128:129], 0// 000000006CC4: D3F300B0 0A030104
	v_mfma_f32_16x16x32_fp8_fp8 v[176:179], a[6:7], v[130:131], v[176:179]// 000000006CCC: D3F300B0 0EC30506
	buffer_load_dwordx4 a[84:87], v47, s[12:15], 0 offen       // 000000006CD4: E05C1000 8083542F
	v_mfma_f32_16x16x32_fp8_fp8 v[180:183], a[4:5], v[148:149], 0// 000000006CDC: D3F300B4 0A032904
	v_mfma_f32_16x16x32_fp8_fp8 v[180:183], a[6:7], v[150:151], v[180:183]// 000000006CE4: D3F300B4 0ED32D06
	v_mfma_f32_16x16x32_fp8_fp8 v[184:187], a[8:9], v[128:129], 0// 000000006CEC: D3F300B8 0A030108
	v_mfma_f32_16x16x32_fp8_fp8 v[184:187], a[10:11], v[130:131], v[184:187]// 000000006CF4: D3F300B8 0EE3050A
	buffer_load_dwordx4 a[88:91], v48, s[12:15], 0 offen       // 000000006CFC: E05C1000 80835830
	v_mfma_f32_16x16x32_fp8_fp8 v[188:191], a[8:9], v[148:149], 0// 000000006D04: D3F300BC 0A032908
	v_mfma_f32_16x16x32_fp8_fp8 v[188:191], a[10:11], v[150:151], v[188:191]// 000000006D0C: D3F300BC 0EF32D0A
	v_mfma_f32_16x16x32_fp8_fp8 v[192:195], a[12:13], v[128:129], 0// 000000006D14: D3F300C0 0A03010C
	v_mfma_f32_16x16x32_fp8_fp8 v[192:195], a[14:15], v[130:131], v[192:195]// 000000006D1C: D3F300C0 0F03050E
	buffer_load_dwordx4 a[92:95], v49, s[12:15], 0 offen       // 000000006D24: E05C1000 80835C31
	s_add_u32 s12, s78, s12                                    // 000000006D2C: 800C0C4E
	s_addc_u32 s13, 0, s13                                     // 000000006D30: 820D0D80
	v_mfma_f32_16x16x32_fp8_fp8 v[196:199], a[12:13], v[148:149], 0// 000000006D34: D3F300C4 0A03290C
	v_mfma_f32_16x16x32_fp8_fp8 v[196:199], a[14:15], v[150:151], v[196:199]// 000000006D3C: D3F300C4 0F132D0E
	s_waitcnt vmcnt(33)                                        // 000000006D44: BF8C8F71
	v_mfma_f32_16x16x32_fp8_fp8 v[168:171], a[16:17], v[132:133], v[168:171]// 000000006D48: D3F300A8 0EA30910
	v_mfma_f32_16x16x32_fp8_fp8 v[168:171], a[18:19], v[134:135], v[168:171]// 000000006D50: D3F300A8 0EA30D12
	buffer_load_dwordx4 a[96:99], v46, s[12:15], 0 offen       // 000000006D58: E05C1000 8083602E
	v_mfma_f32_16x16x32_fp8_fp8 v[172:175], a[16:17], v[152:153], v[172:175]// 000000006D60: D3F300AC 0EB33110
	v_mfma_f32_16x16x32_fp8_fp8 v[172:175], a[18:19], v[154:155], v[172:175]// 000000006D68: D3F300AC 0EB33512
	v_mfma_f32_16x16x32_fp8_fp8 v[176:179], a[20:21], v[132:133], v[176:179]// 000000006D70: D3F300B0 0EC30914
	v_mfma_f32_16x16x32_fp8_fp8 v[176:179], a[22:23], v[134:135], v[176:179]// 000000006D78: D3F300B0 0EC30D16
	buffer_load_dwordx4 a[100:103], v47, s[12:15], 0 offen     // 000000006D80: E05C1000 8083642F
	v_mfma_f32_16x16x32_fp8_fp8 v[180:183], a[20:21], v[152:153], v[180:183]// 000000006D88: D3F300B4 0ED33114
	v_mfma_f32_16x16x32_fp8_fp8 v[180:183], a[22:23], v[154:155], v[180:183]// 000000006D90: D3F300B4 0ED33516
	v_mfma_f32_16x16x32_fp8_fp8 v[184:187], a[24:25], v[132:133], v[184:187]// 000000006D98: D3F300B8 0EE30918
	v_mfma_f32_16x16x32_fp8_fp8 v[184:187], a[26:27], v[134:135], v[184:187]// 000000006DA0: D3F300B8 0EE30D1A
	buffer_load_dwordx4 a[104:107], v48, s[12:15], 0 offen     // 000000006DA8: E05C1000 80836830
	v_mfma_f32_16x16x32_fp8_fp8 v[188:191], a[24:25], v[152:153], v[188:191]// 000000006DB0: D3F300BC 0EF33118
	v_mfma_f32_16x16x32_fp8_fp8 v[188:191], a[26:27], v[154:155], v[188:191]// 000000006DB8: D3F300BC 0EF3351A
	v_mfma_f32_16x16x32_fp8_fp8 v[192:195], a[28:29], v[132:133], v[192:195]// 000000006DC0: D3F300C0 0F03091C
	v_mfma_f32_16x16x32_fp8_fp8 v[192:195], a[30:31], v[134:135], v[192:195]// 000000006DC8: D3F300C0 0F030D1E
	buffer_load_dwordx4 a[108:111], v49, s[12:15], 0 offen     // 000000006DD0: E05C1000 80836C31
	s_add_u32 s12, s78, s12                                    // 000000006DD8: 800C0C4E
	s_addc_u32 s13, 0, s13                                     // 000000006DDC: 820D0D80
	v_mfma_f32_16x16x32_fp8_fp8 v[196:199], a[28:29], v[152:153], v[196:199]// 000000006DE0: D3F300C4 0F13311C
	v_mfma_f32_16x16x32_fp8_fp8 v[196:199], a[30:31], v[154:155], v[196:199]// 000000006DE8: D3F300C4 0F13351E
	s_waitcnt vmcnt(33)                                        // 000000006DF0: BF8C8F71
	v_mfma_f32_16x16x32_fp8_fp8 v[168:171], a[32:33], v[136:137], v[168:171]// 000000006DF4: D3F300A8 0EA31120
	v_mfma_f32_16x16x32_fp8_fp8 v[168:171], a[34:35], v[138:139], v[168:171]// 000000006DFC: D3F300A8 0EA31522
	buffer_load_dwordx4 a[112:115], v46, s[12:15], 0 offen     // 000000006E04: E05C1000 8083702E
	v_mfma_f32_16x16x32_fp8_fp8 v[172:175], a[32:33], v[156:157], v[172:175]// 000000006E0C: D3F300AC 0EB33920
	v_mfma_f32_16x16x32_fp8_fp8 v[172:175], a[34:35], v[158:159], v[172:175]// 000000006E14: D3F300AC 0EB33D22
	v_mfma_f32_16x16x32_fp8_fp8 v[176:179], a[36:37], v[136:137], v[176:179]// 000000006E1C: D3F300B0 0EC31124
	v_mfma_f32_16x16x32_fp8_fp8 v[176:179], a[38:39], v[138:139], v[176:179]// 000000006E24: D3F300B0 0EC31526
	buffer_load_dwordx4 a[116:119], v47, s[12:15], 0 offen     // 000000006E2C: E05C1000 8083742F
	v_mfma_f32_16x16x32_fp8_fp8 v[180:183], a[36:37], v[156:157], v[180:183]// 000000006E34: D3F300B4 0ED33924
	v_mfma_f32_16x16x32_fp8_fp8 v[180:183], a[38:39], v[158:159], v[180:183]// 000000006E3C: D3F300B4 0ED33D26
	v_mfma_f32_16x16x32_fp8_fp8 v[184:187], a[40:41], v[136:137], v[184:187]// 000000006E44: D3F300B8 0EE31128
	v_mfma_f32_16x16x32_fp8_fp8 v[184:187], a[42:43], v[138:139], v[184:187]// 000000006E4C: D3F300B8 0EE3152A
	buffer_load_dwordx4 a[120:123], v48, s[12:15], 0 offen     // 000000006E54: E05C1000 80837830
	v_mfma_f32_16x16x32_fp8_fp8 v[188:191], a[40:41], v[156:157], v[188:191]// 000000006E5C: D3F300BC 0EF33928
	v_mfma_f32_16x16x32_fp8_fp8 v[188:191], a[42:43], v[158:159], v[188:191]// 000000006E64: D3F300BC 0EF33D2A
	v_mfma_f32_16x16x32_fp8_fp8 v[192:195], a[44:45], v[136:137], v[192:195]// 000000006E6C: D3F300C0 0F03112C
	v_mfma_f32_16x16x32_fp8_fp8 v[192:195], a[46:47], v[138:139], v[192:195]// 000000006E74: D3F300C0 0F03152E
	buffer_load_dwordx4 a[124:127], v49, s[12:15], 0 offen     // 000000006E7C: E05C1000 80837C31
	s_add_u32 s12, s78, s12                                    // 000000006E84: 800C0C4E
	s_addc_u32 s13, 0, s13                                     // 000000006E88: 820D0D80
	v_mfma_f32_16x16x32_fp8_fp8 v[196:199], a[44:45], v[156:157], v[196:199]// 000000006E8C: D3F300C4 0F13392C
	v_mfma_f32_16x16x32_fp8_fp8 v[196:199], a[46:47], v[158:159], v[196:199]// 000000006E94: D3F300C4 0F133D2E
	s_waitcnt vmcnt(33)                                        // 000000006E9C: BF8C8F71
	v_mfma_f32_16x16x32_fp8_fp8 v[168:171], a[48:49], v[140:141], v[168:171]// 000000006EA0: D3F300A8 0EA31930
	v_mfma_f32_16x16x32_fp8_fp8 v[168:171], a[50:51], v[142:143], v[168:171]// 000000006EA8: D3F300A8 0EA31D32
	buffer_load_dwordx4 a[128:131], v46, s[12:15], 0 offen     // 000000006EB0: E05C1000 8083802E
	v_mfma_f32_16x16x32_fp8_fp8 v[172:175], a[48:49], v[160:161], v[172:175]// 000000006EB8: D3F300AC 0EB34130
	v_mfma_f32_16x16x32_fp8_fp8 v[172:175], a[50:51], v[162:163], v[172:175]// 000000006EC0: D3F300AC 0EB34532
	v_mfma_f32_16x16x32_fp8_fp8 v[176:179], a[52:53], v[140:141], v[176:179]// 000000006EC8: D3F300B0 0EC31934
	v_mfma_f32_16x16x32_fp8_fp8 v[176:179], a[54:55], v[142:143], v[176:179]// 000000006ED0: D3F300B0 0EC31D36
	buffer_load_dwordx4 a[132:135], v47, s[12:15], 0 offen     // 000000006ED8: E05C1000 8083842F
	v_mfma_f32_16x16x32_fp8_fp8 v[180:183], a[52:53], v[160:161], v[180:183]// 000000006EE0: D3F300B4 0ED34134
	v_mfma_f32_16x16x32_fp8_fp8 v[180:183], a[54:55], v[162:163], v[180:183]// 000000006EE8: D3F300B4 0ED34536
	v_mfma_f32_16x16x32_fp8_fp8 v[184:187], a[56:57], v[140:141], v[184:187]// 000000006EF0: D3F300B8 0EE31938
	v_mfma_f32_16x16x32_fp8_fp8 v[184:187], a[58:59], v[142:143], v[184:187]// 000000006EF8: D3F300B8 0EE31D3A
	buffer_load_dwordx4 a[136:139], v48, s[12:15], 0 offen     // 000000006F00: E05C1000 80838830
	v_mfma_f32_16x16x32_fp8_fp8 v[188:191], a[56:57], v[160:161], v[188:191]// 000000006F08: D3F300BC 0EF34138
	v_mfma_f32_16x16x32_fp8_fp8 v[188:191], a[58:59], v[162:163], v[188:191]// 000000006F10: D3F300BC 0EF3453A
	v_mfma_f32_16x16x32_fp8_fp8 v[192:195], a[60:61], v[140:141], v[192:195]// 000000006F18: D3F300C0 0F03193C
	v_mfma_f32_16x16x32_fp8_fp8 v[192:195], a[62:63], v[142:143], v[192:195]// 000000006F20: D3F300C0 0F031D3E
	buffer_load_dwordx4 a[140:143], v49, s[12:15], 0 offen     // 000000006F28: E05C1000 80838C31
	s_add_u32 s12, s78, s12                                    // 000000006F30: 800C0C4E
	s_addc_u32 s13, 0, s13                                     // 000000006F34: 820D0D80
	v_mfma_f32_16x16x32_fp8_fp8 v[196:199], a[60:61], v[160:161], v[196:199]// 000000006F38: D3F300C4 0F13413C
	v_mfma_f32_16x16x32_fp8_fp8 v[196:199], a[62:63], v[162:163], v[196:199]// 000000006F40: D3F300C4 0F13453E
	s_waitcnt vmcnt(32)                                        // 000000006F48: BF8C8F70
	v_mfma_f32_16x16x32_fp8_fp8 v[168:171], a[64:65], v[144:145], v[168:171]// 000000006F4C: D3F300A8 0EA32140
	v_mfma_f32_16x16x32_fp8_fp8 v[168:171], a[66:67], v[146:147], v[168:171]// 000000006F54: D3F300A8 0EA32542
	buffer_load_dwordx4 a[144:147], v46, s[12:15], 0 offen     // 000000006F5C: E05C1000 8083902E
	v_mfma_f32_16x16x32_fp8_fp8 v[172:175], a[64:65], v[164:165], v[172:175]// 000000006F64: D3F300AC 0EB34940
	v_mfma_f32_16x16x32_fp8_fp8 v[172:175], a[66:67], v[166:167], v[172:175]// 000000006F6C: D3F300AC 0EB34D42
	buffer_load_dword v13, v5, s[16:19], 0 offen               // 000000006F74: E0501000 80040D05
	v_mfma_f32_16x16x32_fp8_fp8 v[176:179], a[68:69], v[144:145], v[176:179]// 000000006F7C: D3F300B0 0EC32144
	v_mfma_f32_16x16x32_fp8_fp8 v[176:179], a[70:71], v[146:147], v[176:179]// 000000006F84: D3F300B0 0EC32546
	buffer_load_dwordx4 a[148:151], v47, s[12:15], 0 offen     // 000000006F8C: E05C1000 8083942F
	v_mfma_f32_16x16x32_fp8_fp8 v[180:183], a[68:69], v[164:165], v[180:183]// 000000006F94: D3F300B4 0ED34944
	v_mfma_f32_16x16x32_fp8_fp8 v[180:183], a[70:71], v[166:167], v[180:183]// 000000006F9C: D3F300B4 0ED34D46
	v_mfma_f32_16x16x32_fp8_fp8 v[184:187], a[72:73], v[144:145], v[184:187]// 000000006FA4: D3F300B8 0EE32148
	v_mfma_f32_16x16x32_fp8_fp8 v[184:187], a[74:75], v[146:147], v[184:187]// 000000006FAC: D3F300B8 0EE3254A
	buffer_load_dwordx4 a[152:155], v48, s[12:15], 0 offen     // 000000006FB4: E05C1000 80839830
	v_mfma_f32_16x16x32_fp8_fp8 v[188:191], a[72:73], v[164:165], v[188:191]// 000000006FBC: D3F300BC 0EF34948
	v_mfma_f32_16x16x32_fp8_fp8 v[188:191], a[74:75], v[166:167], v[188:191]// 000000006FC4: D3F300BC 0EF34D4A
	v_mfma_f32_16x16x32_fp8_fp8 v[192:195], a[76:77], v[144:145], v[192:195]// 000000006FCC: D3F300C0 0F03214C
	v_mfma_f32_16x16x32_fp8_fp8 v[192:195], a[78:79], v[146:147], v[192:195]// 000000006FD4: D3F300C0 0F03254E
	buffer_load_dwordx4 a[156:159], v49, s[12:15], 0 offen     // 000000006FDC: E05C1000 80839C31
	v_mfma_f32_16x16x32_fp8_fp8 v[196:199], a[76:77], v[164:165], v[196:199]// 000000006FE4: D3F300C4 0F13494C
	v_mfma_f32_16x16x32_fp8_fp8 v[196:199], a[78:79], v[166:167], v[196:199]// 000000006FEC: D3F300C4 0F134D4E
	s_add_u32 s60, 0x200, s80                                  // 000000006FF4: 803C50FF 00000200
	s_cmp_lt_u32 s60, s81                                      // 000000006FFC: BF0A513C
	s_cselect_b32 s56, s56, 0                                  // 000000007000: 85388038
	s_cselect_b32 s78, s78, 0                                  // 000000007004: 854E804E
	s_cselect_b32 s79, s79, 0                                  // 000000007008: 854F804F
	s_add_u32 s12, s56, s12                                    // 00000000700C: 800C0C38
	s_addc_u32 s13, 0, s13                                     // 000000007010: 820D0D80
	s_add_u32 s16, s79, s16                                    // 000000007014: 8010104F
	s_addc_u32 s17, 0, s17                                     // 000000007018: 82111180
	v_mov_b32_e32 v42, v24                                     // 00000000701C: 7E540318
	v_mov_b32_e32 v44, v20                                     // 000000007020: 7E580314
	v_mov_b32_e32 v43, v42                                     // 000000007024: 7E56032A
	v_mov_b32_e32 v45, v44                                     // 000000007028: 7E5A032C
	v_pk_mul_f32 v[168:169], v[42:43], v[168:169]              // 00000000702C: D3B140A8 1803512A
	v_pk_mul_f32 v[170:171], v[42:43], v[170:171]              // 000000007034: D3B140AA 1803552A
	v_mul_f32_dpp v168, v12, v168 row_newbcast:0 row_mask:0xf bank_mask:0xf// 00000000703C: 0B5150FA FF01500C
	v_mul_f32_dpp v169, v12, v169 row_newbcast:1 row_mask:0xf bank_mask:0xf// 000000007044: 0B5352FA FF01510C
	v_mul_f32_dpp v170, v12, v170 row_newbcast:2 row_mask:0xf bank_mask:0xf// 00000000704C: 0B5554FA FF01520C
	v_mul_f32_dpp v171, v12, v171 row_newbcast:3 row_mask:0xf bank_mask:0xf// 000000007054: 0B5756FA FF01530C
	v_pk_mul_f32 v[168:169], v[44:45], v[168:169]              // 00000000705C: D3B140A8 1803512C
	v_pk_mul_f32 v[170:171], v[44:45], v[170:171]              // 000000007064: D3B140AA 1803552C
	v_pk_mul_f32 v[176:177], v[42:43], v[176:177]              // 00000000706C: D3B140B0 1803612A
	v_pk_mul_f32 v[178:179], v[42:43], v[178:179]              // 000000007074: D3B140B2 1803652A
	v_mul_f32_dpp v176, v12, v176 row_newbcast:4 row_mask:0xf bank_mask:0xf// 00000000707C: 0B6160FA FF01540C
	v_mul_f32_dpp v177, v12, v177 row_newbcast:5 row_mask:0xf bank_mask:0xf// 000000007084: 0B6362FA FF01550C
	v_mul_f32_dpp v178, v12, v178 row_newbcast:6 row_mask:0xf bank_mask:0xf// 00000000708C: 0B6564FA FF01560C
	v_mul_f32_dpp v179, v12, v179 row_newbcast:7 row_mask:0xf bank_mask:0xf// 000000007094: 0B6766FA FF01570C
	v_pk_mul_f32 v[176:177], v[44:45], v[176:177]              // 00000000709C: D3B140B0 1803612C
	v_pk_mul_f32 v[178:179], v[44:45], v[178:179]              // 0000000070A4: D3B140B2 1803652C
	v_pk_mul_f32 v[184:185], v[42:43], v[184:185]              // 0000000070AC: D3B140B8 1803712A
	v_pk_mul_f32 v[186:187], v[42:43], v[186:187]              // 0000000070B4: D3B140BA 1803752A
	v_mul_f32_dpp v184, v12, v184 row_newbcast:8 row_mask:0xf bank_mask:0xf// 0000000070BC: 0B7170FA FF01580C
	v_mul_f32_dpp v185, v12, v185 row_newbcast:9 row_mask:0xf bank_mask:0xf// 0000000070C4: 0B7372FA FF01590C
	v_mul_f32_dpp v186, v12, v186 row_newbcast:10 row_mask:0xf bank_mask:0xf// 0000000070CC: 0B7574FA FF015A0C
	v_mul_f32_dpp v187, v12, v187 row_newbcast:11 row_mask:0xf bank_mask:0xf// 0000000070D4: 0B7776FA FF015B0C
	v_pk_mul_f32 v[184:185], v[44:45], v[184:185]              // 0000000070DC: D3B140B8 1803712C
	v_pk_mul_f32 v[186:187], v[44:45], v[186:187]              // 0000000070E4: D3B140BA 1803752C
	v_pk_mul_f32 v[192:193], v[42:43], v[192:193]              // 0000000070EC: D3B140C0 1803812A
	v_pk_mul_f32 v[194:195], v[42:43], v[194:195]              // 0000000070F4: D3B140C2 1803852A
	v_mul_f32_dpp v192, v12, v192 row_newbcast:12 row_mask:0xf bank_mask:0xf// 0000000070FC: 0B8180FA FF015C0C
	v_mul_f32_dpp v193, v12, v193 row_newbcast:13 row_mask:0xf bank_mask:0xf// 000000007104: 0B8382FA FF015D0C
	v_mul_f32_dpp v194, v12, v194 row_newbcast:14 row_mask:0xf bank_mask:0xf// 00000000710C: 0B8584FA FF015E0C
	v_mul_f32_dpp v195, v12, v195 row_newbcast:15 row_mask:0xf bank_mask:0xf// 000000007114: 0B8786FA FF015F0C
	v_pk_mul_f32 v[192:193], v[44:45], v[192:193]              // 00000000711C: D3B140C0 1803812C
	v_pk_mul_f32 v[194:195], v[44:45], v[194:195]              // 000000007124: D3B140C2 1803852C
	v_mov_b32_e32 v42, v25                                     // 00000000712C: 7E540319
	v_mov_b32_e32 v44, v21                                     // 000000007130: 7E580315
	v_mov_b32_e32 v43, v42                                     // 000000007134: 7E56032A
	v_mov_b32_e32 v45, v44                                     // 000000007138: 7E5A032C
	v_pk_mul_f32 v[172:173], v[42:43], v[172:173]              // 00000000713C: D3B140AC 1803592A
	v_pk_mul_f32 v[174:175], v[42:43], v[174:175]              // 000000007144: D3B140AE 18035D2A
	v_mul_f32_dpp v172, v12, v172 row_newbcast:0 row_mask:0xf bank_mask:0xf// 00000000714C: 0B5958FA FF01500C
	v_mul_f32_dpp v173, v12, v173 row_newbcast:1 row_mask:0xf bank_mask:0xf// 000000007154: 0B5B5AFA FF01510C
	v_mul_f32_dpp v174, v12, v174 row_newbcast:2 row_mask:0xf bank_mask:0xf// 00000000715C: 0B5D5CFA FF01520C
	v_mul_f32_dpp v175, v12, v175 row_newbcast:3 row_mask:0xf bank_mask:0xf// 000000007164: 0B5F5EFA FF01530C
	v_pk_mul_f32 v[172:173], v[44:45], v[172:173]              // 00000000716C: D3B140AC 1803592C
	v_pk_mul_f32 v[174:175], v[44:45], v[174:175]              // 000000007174: D3B140AE 18035D2C
	v_pk_mul_f32 v[180:181], v[42:43], v[180:181]              // 00000000717C: D3B140B4 1803692A
	v_pk_mul_f32 v[182:183], v[42:43], v[182:183]              // 000000007184: D3B140B6 18036D2A
	v_mul_f32_dpp v180, v12, v180 row_newbcast:4 row_mask:0xf bank_mask:0xf// 00000000718C: 0B6968FA FF01540C
	v_mul_f32_dpp v181, v12, v181 row_newbcast:5 row_mask:0xf bank_mask:0xf// 000000007194: 0B6B6AFA FF01550C
	v_mul_f32_dpp v182, v12, v182 row_newbcast:6 row_mask:0xf bank_mask:0xf// 00000000719C: 0B6D6CFA FF01560C
	v_mul_f32_dpp v183, v12, v183 row_newbcast:7 row_mask:0xf bank_mask:0xf// 0000000071A4: 0B6F6EFA FF01570C
	v_pk_mul_f32 v[180:181], v[44:45], v[180:181]              // 0000000071AC: D3B140B4 1803692C
	v_pk_mul_f32 v[182:183], v[44:45], v[182:183]              // 0000000071B4: D3B140B6 18036D2C
	v_pk_mul_f32 v[188:189], v[42:43], v[188:189]              // 0000000071BC: D3B140BC 1803792A
	v_pk_mul_f32 v[190:191], v[42:43], v[190:191]              // 0000000071C4: D3B140BE 18037D2A
	v_mul_f32_dpp v188, v12, v188 row_newbcast:8 row_mask:0xf bank_mask:0xf// 0000000071CC: 0B7978FA FF01580C
	v_mul_f32_dpp v189, v12, v189 row_newbcast:9 row_mask:0xf bank_mask:0xf// 0000000071D4: 0B7B7AFA FF01590C
	v_mul_f32_dpp v190, v12, v190 row_newbcast:10 row_mask:0xf bank_mask:0xf// 0000000071DC: 0B7D7CFA FF015A0C
	v_mul_f32_dpp v191, v12, v191 row_newbcast:11 row_mask:0xf bank_mask:0xf// 0000000071E4: 0B7F7EFA FF015B0C
	v_pk_mul_f32 v[188:189], v[44:45], v[188:189]              // 0000000071EC: D3B140BC 1803792C
	v_pk_mul_f32 v[190:191], v[44:45], v[190:191]              // 0000000071F4: D3B140BE 18037D2C
	v_pk_mul_f32 v[196:197], v[42:43], v[196:197]              // 0000000071FC: D3B140C4 1803892A
	v_pk_mul_f32 v[198:199], v[42:43], v[198:199]              // 000000007204: D3B140C6 18038D2A
	v_mul_f32_dpp v196, v12, v196 row_newbcast:12 row_mask:0xf bank_mask:0xf// 00000000720C: 0B8988FA FF015C0C
	v_mul_f32_dpp v197, v12, v197 row_newbcast:13 row_mask:0xf bank_mask:0xf// 000000007214: 0B8B8AFA FF015D0C
	v_mul_f32_dpp v198, v12, v198 row_newbcast:14 row_mask:0xf bank_mask:0xf// 00000000721C: 0B8D8CFA FF015E0C
	v_mul_f32_dpp v199, v12, v199 row_newbcast:15 row_mask:0xf bank_mask:0xf// 000000007224: 0B8F8EFA FF015F0C
	v_pk_mul_f32 v[196:197], v[44:45], v[196:197]              // 00000000722C: D3B140C4 1803892C
	v_pk_mul_f32 v[198:199], v[44:45], v[198:199]              // 000000007234: D3B140C6 18038D2C
	v_cmp_u_f32_e64 s[48:49], v168, v168                       // 00000000723C: D0480030 000351A8
	v_add3_u32 v50, v168, v53, 1                               // 000000007244: D1FF0032 02066BA8
	v_cndmask_b32_e64 v42, v50, v52, s[48:49]                  // 00000000724C: D100002A 00C26932
	v_cmp_u_f32_e64 s[48:49], v169, v169                       // 000000007254: D0480030 000353A9
	v_add3_u32 v50, v169, v53, 1                               // 00000000725C: D1FF0032 02066BA9
	v_cndmask_b32_e64 v43, v50, v52, s[48:49]                  // 000000007264: D100002B 00C26932
	v_perm_b32 v168, v43, v42, s52                             // 00000000726C: D1ED00A8 00D2552B
	v_cmp_u_f32_e64 s[48:49], v170, v170                       // 000000007274: D0480030 000355AA
	v_add3_u32 v50, v170, v53, 1                               // 00000000727C: D1FF0032 02066BAA
	v_cndmask_b32_e64 v42, v50, v52, s[48:49]                  // 000000007284: D100002A 00C26932
	v_cmp_u_f32_e64 s[48:49], v171, v171                       // 00000000728C: D0480030 000357AB
	v_add3_u32 v50, v171, v53, 1                               // 000000007294: D1FF0032 02066BAB
	v_cndmask_b32_e64 v43, v50, v52, s[48:49]                  // 00000000729C: D100002B 00C26932
	v_perm_b32 v169, v43, v42, s52                             // 0000000072A4: D1ED00A9 00D2552B
	v_cmp_u_f32_e64 s[48:49], v172, v172                       // 0000000072AC: D0480030 000359AC
	v_add3_u32 v50, v172, v53, 1                               // 0000000072B4: D1FF0032 02066BAC
	v_cndmask_b32_e64 v42, v50, v52, s[48:49]                  // 0000000072BC: D100002A 00C26932
	v_cmp_u_f32_e64 s[48:49], v173, v173                       // 0000000072C4: D0480030 00035BAD
	v_add3_u32 v50, v173, v53, 1                               // 0000000072CC: D1FF0032 02066BAD
	v_cndmask_b32_e64 v43, v50, v52, s[48:49]                  // 0000000072D4: D100002B 00C26932
	v_perm_b32 v170, v43, v42, s52                             // 0000000072DC: D1ED00AA 00D2552B
	v_cmp_u_f32_e64 s[48:49], v174, v174                       // 0000000072E4: D0480030 00035DAE
	v_add3_u32 v50, v174, v53, 1                               // 0000000072EC: D1FF0032 02066BAE
	v_cndmask_b32_e64 v42, v50, v52, s[48:49]                  // 0000000072F4: D100002A 00C26932
	v_cmp_u_f32_e64 s[48:49], v175, v175                       // 0000000072FC: D0480030 00035FAF
	v_add3_u32 v50, v175, v53, 1                               // 000000007304: D1FF0032 02066BAF
	v_cndmask_b32_e64 v43, v50, v52, s[48:49]                  // 00000000730C: D100002B 00C26932
	v_perm_b32 v171, v43, v42, s52                             // 000000007314: D1ED00AB 00D2552B
	v_cmp_u_f32_e64 s[48:49], v176, v176                       // 00000000731C: D0480030 000361B0
	v_add3_u32 v50, v176, v53, 1                               // 000000007324: D1FF0032 02066BB0
	v_cndmask_b32_e64 v42, v50, v52, s[48:49]                  // 00000000732C: D100002A 00C26932
	v_cmp_u_f32_e64 s[48:49], v177, v177                       // 000000007334: D0480030 000363B1
	v_add3_u32 v50, v177, v53, 1                               // 00000000733C: D1FF0032 02066BB1
	v_cndmask_b32_e64 v43, v50, v52, s[48:49]                  // 000000007344: D100002B 00C26932
	v_perm_b32 v172, v43, v42, s52                             // 00000000734C: D1ED00AC 00D2552B
	v_cmp_u_f32_e64 s[48:49], v178, v178                       // 000000007354: D0480030 000365B2
	v_add3_u32 v50, v178, v53, 1                               // 00000000735C: D1FF0032 02066BB2
	v_cndmask_b32_e64 v42, v50, v52, s[48:49]                  // 000000007364: D100002A 00C26932
	v_cmp_u_f32_e64 s[48:49], v179, v179                       // 00000000736C: D0480030 000367B3
	v_add3_u32 v50, v179, v53, 1                               // 000000007374: D1FF0032 02066BB3
	v_cndmask_b32_e64 v43, v50, v52, s[48:49]                  // 00000000737C: D100002B 00C26932
	v_perm_b32 v173, v43, v42, s52                             // 000000007384: D1ED00AD 00D2552B
	v_cmp_u_f32_e64 s[48:49], v180, v180                       // 00000000738C: D0480030 000369B4
	v_add3_u32 v50, v180, v53, 1                               // 000000007394: D1FF0032 02066BB4
	v_cndmask_b32_e64 v42, v50, v52, s[48:49]                  // 00000000739C: D100002A 00C26932
	v_cmp_u_f32_e64 s[48:49], v181, v181                       // 0000000073A4: D0480030 00036BB5
	v_add3_u32 v50, v181, v53, 1                               // 0000000073AC: D1FF0032 02066BB5
	v_cndmask_b32_e64 v43, v50, v52, s[48:49]                  // 0000000073B4: D100002B 00C26932
	v_perm_b32 v174, v43, v42, s52                             // 0000000073BC: D1ED00AE 00D2552B
	v_cmp_u_f32_e64 s[48:49], v182, v182                       // 0000000073C4: D0480030 00036DB6
	v_add3_u32 v50, v182, v53, 1                               // 0000000073CC: D1FF0032 02066BB6
	v_cndmask_b32_e64 v42, v50, v52, s[48:49]                  // 0000000073D4: D100002A 00C26932
	v_cmp_u_f32_e64 s[48:49], v183, v183                       // 0000000073DC: D0480030 00036FB7
	v_add3_u32 v50, v183, v53, 1                               // 0000000073E4: D1FF0032 02066BB7
	v_cndmask_b32_e64 v43, v50, v52, s[48:49]                  // 0000000073EC: D100002B 00C26932
	v_perm_b32 v175, v43, v42, s52                             // 0000000073F4: D1ED00AF 00D2552B
	v_cmp_u_f32_e64 s[48:49], v184, v184                       // 0000000073FC: D0480030 000371B8
	v_add3_u32 v50, v184, v53, 1                               // 000000007404: D1FF0032 02066BB8
	v_cndmask_b32_e64 v42, v50, v52, s[48:49]                  // 00000000740C: D100002A 00C26932
	v_cmp_u_f32_e64 s[48:49], v185, v185                       // 000000007414: D0480030 000373B9
	v_add3_u32 v50, v185, v53, 1                               // 00000000741C: D1FF0032 02066BB9
	v_cndmask_b32_e64 v43, v50, v52, s[48:49]                  // 000000007424: D100002B 00C26932
	v_perm_b32 v176, v43, v42, s52                             // 00000000742C: D1ED00B0 00D2552B
	v_cmp_u_f32_e64 s[48:49], v186, v186                       // 000000007434: D0480030 000375BA
	v_add3_u32 v50, v186, v53, 1                               // 00000000743C: D1FF0032 02066BBA
	v_cndmask_b32_e64 v42, v50, v52, s[48:49]                  // 000000007444: D100002A 00C26932
	v_cmp_u_f32_e64 s[48:49], v187, v187                       // 00000000744C: D0480030 000377BB
	v_add3_u32 v50, v187, v53, 1                               // 000000007454: D1FF0032 02066BBB
	v_cndmask_b32_e64 v43, v50, v52, s[48:49]                  // 00000000745C: D100002B 00C26932
	v_perm_b32 v177, v43, v42, s52                             // 000000007464: D1ED00B1 00D2552B
	v_cmp_u_f32_e64 s[48:49], v188, v188                       // 00000000746C: D0480030 000379BC
	v_add3_u32 v50, v188, v53, 1                               // 000000007474: D1FF0032 02066BBC
	v_cndmask_b32_e64 v42, v50, v52, s[48:49]                  // 00000000747C: D100002A 00C26932
	v_cmp_u_f32_e64 s[48:49], v189, v189                       // 000000007484: D0480030 00037BBD
	v_add3_u32 v50, v189, v53, 1                               // 00000000748C: D1FF0032 02066BBD
	v_cndmask_b32_e64 v43, v50, v52, s[48:49]                  // 000000007494: D100002B 00C26932
	v_perm_b32 v178, v43, v42, s52                             // 00000000749C: D1ED00B2 00D2552B
	v_cmp_u_f32_e64 s[48:49], v190, v190                       // 0000000074A4: D0480030 00037DBE
	v_add3_u32 v50, v190, v53, 1                               // 0000000074AC: D1FF0032 02066BBE
	v_cndmask_b32_e64 v42, v50, v52, s[48:49]                  // 0000000074B4: D100002A 00C26932
	v_cmp_u_f32_e64 s[48:49], v191, v191                       // 0000000074BC: D0480030 00037FBF
	v_add3_u32 v50, v191, v53, 1                               // 0000000074C4: D1FF0032 02066BBF
	v_cndmask_b32_e64 v43, v50, v52, s[48:49]                  // 0000000074CC: D100002B 00C26932
	v_perm_b32 v179, v43, v42, s52                             // 0000000074D4: D1ED00B3 00D2552B
	v_cmp_u_f32_e64 s[48:49], v192, v192                       // 0000000074DC: D0480030 000381C0
	v_add3_u32 v50, v192, v53, 1                               // 0000000074E4: D1FF0032 02066BC0
	v_cndmask_b32_e64 v42, v50, v52, s[48:49]                  // 0000000074EC: D100002A 00C26932
	v_cmp_u_f32_e64 s[48:49], v193, v193                       // 0000000074F4: D0480030 000383C1
	v_add3_u32 v50, v193, v53, 1                               // 0000000074FC: D1FF0032 02066BC1
	v_cndmask_b32_e64 v43, v50, v52, s[48:49]                  // 000000007504: D100002B 00C26932
	v_perm_b32 v180, v43, v42, s52                             // 00000000750C: D1ED00B4 00D2552B
	v_cmp_u_f32_e64 s[48:49], v194, v194                       // 000000007514: D0480030 000385C2
	v_add3_u32 v50, v194, v53, 1                               // 00000000751C: D1FF0032 02066BC2
	v_cndmask_b32_e64 v42, v50, v52, s[48:49]                  // 000000007524: D100002A 00C26932
	v_cmp_u_f32_e64 s[48:49], v195, v195                       // 00000000752C: D0480030 000387C3
	v_add3_u32 v50, v195, v53, 1                               // 000000007534: D1FF0032 02066BC3
	v_cndmask_b32_e64 v43, v50, v52, s[48:49]                  // 00000000753C: D100002B 00C26932
	v_perm_b32 v181, v43, v42, s52                             // 000000007544: D1ED00B5 00D2552B
	v_cmp_u_f32_e64 s[48:49], v196, v196                       // 00000000754C: D0480030 000389C4
	v_add3_u32 v50, v196, v53, 1                               // 000000007554: D1FF0032 02066BC4
	v_cndmask_b32_e64 v42, v50, v52, s[48:49]                  // 00000000755C: D100002A 00C26932
	v_cmp_u_f32_e64 s[48:49], v197, v197                       // 000000007564: D0480030 00038BC5
	v_add3_u32 v50, v197, v53, 1                               // 00000000756C: D1FF0032 02066BC5
	v_cndmask_b32_e64 v43, v50, v52, s[48:49]                  // 000000007574: D100002B 00C26932
	v_perm_b32 v182, v43, v42, s52                             // 00000000757C: D1ED00B6 00D2552B
	v_cmp_u_f32_e64 s[48:49], v198, v198                       // 000000007584: D0480030 00038DC6
	v_add3_u32 v50, v198, v53, 1                               // 00000000758C: D1FF0032 02066BC6
	v_cndmask_b32_e64 v42, v50, v52, s[48:49]                  // 000000007594: D100002A 00C26932
	v_cmp_u_f32_e64 s[48:49], v199, v199                       // 00000000759C: D0480030 00038FC7
	v_add3_u32 v50, v199, v53, 1                               // 0000000075A4: D1FF0032 02066BC7
	v_cndmask_b32_e64 v43, v50, v52, s[48:49]                  // 0000000075AC: D100002B 00C26932
	v_perm_b32 v183, v43, v42, s52                             // 0000000075B4: D1ED00B7 00D2552B
	ds_write_b64 v3, v[168:169] offset:2048                    // 0000000075BC: D89A0800 0000A803
	ds_write_b64 v3, v[170:171] offset:10752                   // 0000000075C4: D89A2A00 0000AA03
	ds_write_b64 v3, v[172:173] offset:4224                    // 0000000075CC: D89A1080 0000AC03
	ds_write_b64 v3, v[174:175] offset:12928                   // 0000000075D4: D89A3280 0000AE03
	ds_write_b64 v3, v[176:177] offset:6400                    // 0000000075DC: D89A1900 0000B003
	ds_write_b64 v3, v[178:179] offset:15104                   // 0000000075E4: D89A3B00 0000B203
	ds_write_b64 v3, v[180:181] offset:8576                    // 0000000075EC: D89A2180 0000B403
	ds_write_b64 v3, v[182:183] offset:17280                   // 0000000075F4: D89A4380 0000B603
	s_waitcnt lgkmcnt(0)                                       // 0000000075FC: BF8CC07F
	s_barrier                                                  // 000000007600: BF8A0000
	ds_read_b32 v64, v4 offset:2048                            // 000000007604: D86C0800 40000004
	ds_read_b32 v65, v4 offset:6400                            // 00000000760C: D86C1900 41000004
	ds_read_b32 v66, v4 offset:2080                            // 000000007614: D86C0820 42000004
	ds_read_b32 v67, v4 offset:6432                            // 00000000761C: D86C1920 43000004
	ds_read_b32 v68, v4 offset:2112                            // 000000007624: D86C0840 44000004
	ds_read_b32 v69, v4 offset:6464                            // 00000000762C: D86C1940 45000004
	ds_read_b32 v70, v4 offset:2144                            // 000000007634: D86C0860 46000004
	ds_read_b32 v71, v4 offset:6496                            // 00000000763C: D86C1960 47000004
	ds_read_b32 v72, v4 offset:10752                           // 000000007644: D86C2A00 48000004
	ds_read_b32 v73, v4 offset:15104                           // 00000000764C: D86C3B00 49000004
	ds_read_b32 v74, v4 offset:10784                           // 000000007654: D86C2A20 4A000004
	ds_read_b32 v75, v4 offset:15136                           // 00000000765C: D86C3B20 4B000004
	ds_read_b32 v76, v4 offset:10816                           // 000000007664: D86C2A40 4C000004
	ds_read_b32 v77, v4 offset:15168                           // 00000000766C: D86C3B40 4D000004
	ds_read_b32 v78, v4 offset:10848                           // 000000007674: D86C2A60 4E000004
	ds_read_b32 v79, v4 offset:15200                           // 00000000767C: D86C3B60 4F000004
	s_waitcnt lgkmcnt(0)                                       // 000000007684: BF8CC07F
	s_mov_b64 exec, s[20:21]                                   // 000000007688: BEFE0114
	global_atomic_pk_add_bf16 v80, v64, s[8:9]                 // 00000000768C: DD488000 00084050
	s_mov_b64 exec, s[36:37]                                   // 000000007694: BEFE0124
	s_mov_b64 exec, s[20:21]                                   // 000000007698: BEFE0114
	global_atomic_pk_add_bf16 v80, v65, s[8:9] offset:256      // 00000000769C: DD488100 00084150
	s_mov_b64 exec, s[36:37]                                   // 0000000076A4: BEFE0124
	s_mov_b64 exec, s[22:23]                                   // 0000000076A8: BEFE0116
	global_atomic_pk_add_bf16 v82, v66, s[8:9]                 // 0000000076AC: DD488000 00084252
	s_mov_b64 exec, s[36:37]                                   // 0000000076B4: BEFE0124
	s_mov_b64 exec, s[22:23]                                   // 0000000076B8: BEFE0116
	global_atomic_pk_add_bf16 v82, v67, s[8:9] offset:256      // 0000000076BC: DD488100 00084352
	s_mov_b64 exec, s[36:37]                                   // 0000000076C4: BEFE0124
	s_mov_b64 exec, s[24:25]                                   // 0000000076C8: BEFE0118
	global_atomic_pk_add_bf16 v84, v68, s[8:9]                 // 0000000076CC: DD488000 00084454
	s_mov_b64 exec, s[36:37]                                   // 0000000076D4: BEFE0124
	s_mov_b64 exec, s[24:25]                                   // 0000000076D8: BEFE0118
	global_atomic_pk_add_bf16 v84, v69, s[8:9] offset:256      // 0000000076DC: DD488100 00084554
	s_mov_b64 exec, s[36:37]                                   // 0000000076E4: BEFE0124
	s_mov_b64 exec, s[26:27]                                   // 0000000076E8: BEFE011A
	global_atomic_pk_add_bf16 v86, v70, s[8:9]                 // 0000000076EC: DD488000 00084656
	s_mov_b64 exec, s[36:37]                                   // 0000000076F4: BEFE0124
	s_mov_b64 exec, s[26:27]                                   // 0000000076F8: BEFE011A
	global_atomic_pk_add_bf16 v86, v71, s[8:9] offset:256      // 0000000076FC: DD488100 00084756
	s_mov_b64 exec, s[36:37]                                   // 000000007704: BEFE0124
	s_mov_b64 exec, s[28:29]                                   // 000000007708: BEFE011C
	global_atomic_pk_add_bf16 v88, v72, s[8:9]                 // 00000000770C: DD488000 00084858
	s_mov_b64 exec, s[36:37]                                   // 000000007714: BEFE0124
	s_mov_b64 exec, s[28:29]                                   // 000000007718: BEFE011C
	global_atomic_pk_add_bf16 v88, v73, s[8:9] offset:256      // 00000000771C: DD488100 00084958
	s_mov_b64 exec, s[36:37]                                   // 000000007724: BEFE0124
	s_mov_b64 exec, s[30:31]                                   // 000000007728: BEFE011E
	global_atomic_pk_add_bf16 v90, v74, s[8:9]                 // 00000000772C: DD488000 00084A5A
	s_mov_b64 exec, s[36:37]                                   // 000000007734: BEFE0124
	s_mov_b64 exec, s[30:31]                                   // 000000007738: BEFE011E
	global_atomic_pk_add_bf16 v90, v75, s[8:9] offset:256      // 00000000773C: DD488100 00084B5A
	s_mov_b64 exec, s[36:37]                                   // 000000007744: BEFE0124
	s_mov_b64 exec, s[32:33]                                   // 000000007748: BEFE0120
	global_atomic_pk_add_bf16 v92, v76, s[8:9]                 // 00000000774C: DD488000 00084C5C
	s_mov_b64 exec, s[36:37]                                   // 000000007754: BEFE0124
	s_mov_b64 exec, s[32:33]                                   // 000000007758: BEFE0120
	global_atomic_pk_add_bf16 v92, v77, s[8:9] offset:256      // 00000000775C: DD488100 00084D5C
	s_mov_b64 exec, s[36:37]                                   // 000000007764: BEFE0124
	s_mov_b64 exec, s[34:35]                                   // 000000007768: BEFE0122
	global_atomic_pk_add_bf16 v94, v78, s[8:9]                 // 00000000776C: DD488000 00084E5E
	s_mov_b64 exec, s[36:37]                                   // 000000007774: BEFE0124
	s_mov_b64 exec, s[34:35]                                   // 000000007778: BEFE0122
	global_atomic_pk_add_bf16 v94, v79, s[8:9] offset:256      // 00000000777C: DD488100 00084F5E
	s_mov_b64 exec, s[36:37]                                   // 000000007784: BEFE0124
	s_add_u32 s8, s59, s8                                      // 000000007788: 8008083B
	s_addc_u32 s9, 0, s9                                       // 00000000778C: 82090980
	s_addk_i32 s80, 0x100                                      // 000000007790: B7500100
	s_cmp_lt_i32 s80, s81                                      // 000000007794: BF045150
	s_cbranch_scc0 label_152A                                  // 000000007798: BF8402C3
	s_waitcnt vmcnt(33)                                        // 00000000779C: BF8C8F71
	s_barrier                                                  // 0000000077A0: BF8A0000
	v_mfma_f32_16x16x32_fp8_fp8 v[200:203], a[80:81], v[128:129], 0// 0000000077A4: D3F300C8 0A030150
	v_mfma_f32_16x16x32_fp8_fp8 v[200:203], a[82:83], v[130:131], v[200:203]// 0000000077AC: D3F300C8 0F230552
	buffer_load_dwordx4 a[0:3], v46, s[12:15], 0 offen         // 0000000077B4: E05C1000 8083002E
	v_mfma_f32_16x16x32_fp8_fp8 v[204:207], a[80:81], v[148:149], 0// 0000000077BC: D3F300CC 0A032950
	v_mfma_f32_16x16x32_fp8_fp8 v[204:207], a[82:83], v[150:151], v[204:207]// 0000000077C4: D3F300CC 0F332D52
	v_mfma_f32_16x16x32_fp8_fp8 v[208:211], a[84:85], v[128:129], 0// 0000000077CC: D3F300D0 0A030154
	v_mfma_f32_16x16x32_fp8_fp8 v[208:211], a[86:87], v[130:131], v[208:211]// 0000000077D4: D3F300D0 0F430556
	buffer_load_dwordx4 a[4:7], v47, s[12:15], 0 offen         // 0000000077DC: E05C1000 8083042F
	v_mfma_f32_16x16x32_fp8_fp8 v[212:215], a[84:85], v[148:149], 0// 0000000077E4: D3F300D4 0A032954
	v_mfma_f32_16x16x32_fp8_fp8 v[212:215], a[86:87], v[150:151], v[212:215]// 0000000077EC: D3F300D4 0F532D56
	v_mfma_f32_16x16x32_fp8_fp8 v[216:219], a[88:89], v[128:129], 0// 0000000077F4: D3F300D8 0A030158
	v_mfma_f32_16x16x32_fp8_fp8 v[216:219], a[90:91], v[130:131], v[216:219]// 0000000077FC: D3F300D8 0F63055A
	buffer_load_dwordx4 a[8:11], v48, s[12:15], 0 offen        // 000000007804: E05C1000 80830830
	v_mfma_f32_16x16x32_fp8_fp8 v[220:223], a[88:89], v[148:149], 0// 00000000780C: D3F300DC 0A032958
	v_mfma_f32_16x16x32_fp8_fp8 v[220:223], a[90:91], v[150:151], v[220:223]// 000000007814: D3F300DC 0F732D5A
	v_mfma_f32_16x16x32_fp8_fp8 v[224:227], a[92:93], v[128:129], 0// 00000000781C: D3F300E0 0A03015C
	v_mfma_f32_16x16x32_fp8_fp8 v[224:227], a[94:95], v[130:131], v[224:227]// 000000007824: D3F300E0 0F83055E
	buffer_load_dwordx4 a[12:15], v49, s[12:15], 0 offen       // 00000000782C: E05C1000 80830C31
	s_add_u32 s12, s78, s12                                    // 000000007834: 800C0C4E
	s_addc_u32 s13, 0, s13                                     // 000000007838: 820D0D80
	v_mfma_f32_16x16x32_fp8_fp8 v[228:231], a[92:93], v[148:149], 0// 00000000783C: D3F300E4 0A03295C
	v_mfma_f32_16x16x32_fp8_fp8 v[228:231], a[94:95], v[150:151], v[228:231]// 000000007844: D3F300E4 0F932D5E
	s_waitcnt vmcnt(33)                                        // 00000000784C: BF8C8F71
	v_mfma_f32_16x16x32_fp8_fp8 v[200:203], a[96:97], v[132:133], v[200:203]// 000000007850: D3F300C8 0F230960
	v_mfma_f32_16x16x32_fp8_fp8 v[200:203], a[98:99], v[134:135], v[200:203]// 000000007858: D3F300C8 0F230D62
	buffer_load_dwordx4 a[16:19], v46, s[12:15], 0 offen       // 000000007860: E05C1000 8083102E
	v_mfma_f32_16x16x32_fp8_fp8 v[204:207], a[96:97], v[152:153], v[204:207]// 000000007868: D3F300CC 0F333160
	v_mfma_f32_16x16x32_fp8_fp8 v[204:207], a[98:99], v[154:155], v[204:207]// 000000007870: D3F300CC 0F333562
	v_mfma_f32_16x16x32_fp8_fp8 v[208:211], a[100:101], v[132:133], v[208:211]// 000000007878: D3F300D0 0F430964
	v_mfma_f32_16x16x32_fp8_fp8 v[208:211], a[102:103], v[134:135], v[208:211]// 000000007880: D3F300D0 0F430D66
	buffer_load_dwordx4 a[20:23], v47, s[12:15], 0 offen       // 000000007888: E05C1000 8083142F
	v_mfma_f32_16x16x32_fp8_fp8 v[212:215], a[100:101], v[152:153], v[212:215]// 000000007890: D3F300D4 0F533164
	v_mfma_f32_16x16x32_fp8_fp8 v[212:215], a[102:103], v[154:155], v[212:215]// 000000007898: D3F300D4 0F533566
	v_mfma_f32_16x16x32_fp8_fp8 v[216:219], a[104:105], v[132:133], v[216:219]// 0000000078A0: D3F300D8 0F630968
	v_mfma_f32_16x16x32_fp8_fp8 v[216:219], a[106:107], v[134:135], v[216:219]// 0000000078A8: D3F300D8 0F630D6A
	buffer_load_dwordx4 a[24:27], v48, s[12:15], 0 offen       // 0000000078B0: E05C1000 80831830
	v_mfma_f32_16x16x32_fp8_fp8 v[220:223], a[104:105], v[152:153], v[220:223]// 0000000078B8: D3F300DC 0F733168
	v_mfma_f32_16x16x32_fp8_fp8 v[220:223], a[106:107], v[154:155], v[220:223]// 0000000078C0: D3F300DC 0F73356A
	v_mfma_f32_16x16x32_fp8_fp8 v[224:227], a[108:109], v[132:133], v[224:227]// 0000000078C8: D3F300E0 0F83096C
	v_mfma_f32_16x16x32_fp8_fp8 v[224:227], a[110:111], v[134:135], v[224:227]// 0000000078D0: D3F300E0 0F830D6E
	buffer_load_dwordx4 a[28:31], v49, s[12:15], 0 offen       // 0000000078D8: E05C1000 80831C31
	s_add_u32 s12, s78, s12                                    // 0000000078E0: 800C0C4E
	s_addc_u32 s13, 0, s13                                     // 0000000078E4: 820D0D80
	v_mfma_f32_16x16x32_fp8_fp8 v[228:231], a[108:109], v[152:153], v[228:231]// 0000000078E8: D3F300E4 0F93316C
	v_mfma_f32_16x16x32_fp8_fp8 v[228:231], a[110:111], v[154:155], v[228:231]// 0000000078F0: D3F300E4 0F93356E
	s_waitcnt vmcnt(33)                                        // 0000000078F8: BF8C8F71
	v_mfma_f32_16x16x32_fp8_fp8 v[200:203], a[112:113], v[136:137], v[200:203]// 0000000078FC: D3F300C8 0F231170
	v_mfma_f32_16x16x32_fp8_fp8 v[200:203], a[114:115], v[138:139], v[200:203]// 000000007904: D3F300C8 0F231572
	buffer_load_dwordx4 a[32:35], v46, s[12:15], 0 offen       // 00000000790C: E05C1000 8083202E
	v_mfma_f32_16x16x32_fp8_fp8 v[204:207], a[112:113], v[156:157], v[204:207]// 000000007914: D3F300CC 0F333970
	v_mfma_f32_16x16x32_fp8_fp8 v[204:207], a[114:115], v[158:159], v[204:207]// 00000000791C: D3F300CC 0F333D72
	v_mfma_f32_16x16x32_fp8_fp8 v[208:211], a[116:117], v[136:137], v[208:211]// 000000007924: D3F300D0 0F431174
	v_mfma_f32_16x16x32_fp8_fp8 v[208:211], a[118:119], v[138:139], v[208:211]// 00000000792C: D3F300D0 0F431576
	buffer_load_dwordx4 a[36:39], v47, s[12:15], 0 offen       // 000000007934: E05C1000 8083242F
	v_mfma_f32_16x16x32_fp8_fp8 v[212:215], a[116:117], v[156:157], v[212:215]// 00000000793C: D3F300D4 0F533974
	v_mfma_f32_16x16x32_fp8_fp8 v[212:215], a[118:119], v[158:159], v[212:215]// 000000007944: D3F300D4 0F533D76
	v_mfma_f32_16x16x32_fp8_fp8 v[216:219], a[120:121], v[136:137], v[216:219]// 00000000794C: D3F300D8 0F631178
	v_mfma_f32_16x16x32_fp8_fp8 v[216:219], a[122:123], v[138:139], v[216:219]// 000000007954: D3F300D8 0F63157A
	buffer_load_dwordx4 a[40:43], v48, s[12:15], 0 offen       // 00000000795C: E05C1000 80832830
	v_mfma_f32_16x16x32_fp8_fp8 v[220:223], a[120:121], v[156:157], v[220:223]// 000000007964: D3F300DC 0F733978
	v_mfma_f32_16x16x32_fp8_fp8 v[220:223], a[122:123], v[158:159], v[220:223]// 00000000796C: D3F300DC 0F733D7A
	v_mfma_f32_16x16x32_fp8_fp8 v[224:227], a[124:125], v[136:137], v[224:227]// 000000007974: D3F300E0 0F83117C
	v_mfma_f32_16x16x32_fp8_fp8 v[224:227], a[126:127], v[138:139], v[224:227]// 00000000797C: D3F300E0 0F83157E
	buffer_load_dwordx4 a[44:47], v49, s[12:15], 0 offen       // 000000007984: E05C1000 80832C31
	s_add_u32 s12, s78, s12                                    // 00000000798C: 800C0C4E
	s_addc_u32 s13, 0, s13                                     // 000000007990: 820D0D80
	v_mfma_f32_16x16x32_fp8_fp8 v[228:231], a[124:125], v[156:157], v[228:231]// 000000007994: D3F300E4 0F93397C
	v_mfma_f32_16x16x32_fp8_fp8 v[228:231], a[126:127], v[158:159], v[228:231]// 00000000799C: D3F300E4 0F933D7E
	s_waitcnt vmcnt(33)                                        // 0000000079A4: BF8C8F71
	v_mfma_f32_16x16x32_fp8_fp8 v[200:203], a[128:129], v[140:141], v[200:203]// 0000000079A8: D3F300C8 0F231980
	v_mfma_f32_16x16x32_fp8_fp8 v[200:203], a[130:131], v[142:143], v[200:203]// 0000000079B0: D3F300C8 0F231D82
	buffer_load_dwordx4 a[48:51], v46, s[12:15], 0 offen       // 0000000079B8: E05C1000 8083302E
	v_mfma_f32_16x16x32_fp8_fp8 v[204:207], a[128:129], v[160:161], v[204:207]// 0000000079C0: D3F300CC 0F334180
	v_mfma_f32_16x16x32_fp8_fp8 v[204:207], a[130:131], v[162:163], v[204:207]// 0000000079C8: D3F300CC 0F334582
	v_mfma_f32_16x16x32_fp8_fp8 v[208:211], a[132:133], v[140:141], v[208:211]// 0000000079D0: D3F300D0 0F431984
	v_mfma_f32_16x16x32_fp8_fp8 v[208:211], a[134:135], v[142:143], v[208:211]// 0000000079D8: D3F300D0 0F431D86
	buffer_load_dwordx4 a[52:55], v47, s[12:15], 0 offen       // 0000000079E0: E05C1000 8083342F
	v_mfma_f32_16x16x32_fp8_fp8 v[212:215], a[132:133], v[160:161], v[212:215]// 0000000079E8: D3F300D4 0F534184
	v_mfma_f32_16x16x32_fp8_fp8 v[212:215], a[134:135], v[162:163], v[212:215]// 0000000079F0: D3F300D4 0F534586
	v_mfma_f32_16x16x32_fp8_fp8 v[216:219], a[136:137], v[140:141], v[216:219]// 0000000079F8: D3F300D8 0F631988
	v_mfma_f32_16x16x32_fp8_fp8 v[216:219], a[138:139], v[142:143], v[216:219]// 000000007A00: D3F300D8 0F631D8A
	buffer_load_dwordx4 a[56:59], v48, s[12:15], 0 offen       // 000000007A08: E05C1000 80833830
	v_mfma_f32_16x16x32_fp8_fp8 v[220:223], a[136:137], v[160:161], v[220:223]// 000000007A10: D3F300DC 0F734188
	v_mfma_f32_16x16x32_fp8_fp8 v[220:223], a[138:139], v[162:163], v[220:223]// 000000007A18: D3F300DC 0F73458A
	v_mfma_f32_16x16x32_fp8_fp8 v[224:227], a[140:141], v[140:141], v[224:227]// 000000007A20: D3F300E0 0F83198C
	v_mfma_f32_16x16x32_fp8_fp8 v[224:227], a[142:143], v[142:143], v[224:227]// 000000007A28: D3F300E0 0F831D8E
	buffer_load_dwordx4 a[60:63], v49, s[12:15], 0 offen       // 000000007A30: E05C1000 80833C31
	s_add_u32 s12, s78, s12                                    // 000000007A38: 800C0C4E
	s_addc_u32 s13, 0, s13                                     // 000000007A3C: 820D0D80
	v_mfma_f32_16x16x32_fp8_fp8 v[228:231], a[140:141], v[160:161], v[228:231]// 000000007A40: D3F300E4 0F93418C
	v_mfma_f32_16x16x32_fp8_fp8 v[228:231], a[142:143], v[162:163], v[228:231]// 000000007A48: D3F300E4 0F93458E
	s_waitcnt vmcnt(32)                                        // 000000007A50: BF8C8F70
	v_mfma_f32_16x16x32_fp8_fp8 v[200:203], a[144:145], v[144:145], v[200:203]// 000000007A54: D3F300C8 0F232190
	v_mfma_f32_16x16x32_fp8_fp8 v[200:203], a[146:147], v[146:147], v[200:203]// 000000007A5C: D3F300C8 0F232592
	buffer_load_dwordx4 a[64:67], v46, s[12:15], 0 offen       // 000000007A64: E05C1000 8083402E
	v_mfma_f32_16x16x32_fp8_fp8 v[204:207], a[144:145], v[164:165], v[204:207]// 000000007A6C: D3F300CC 0F334990
	v_mfma_f32_16x16x32_fp8_fp8 v[204:207], a[146:147], v[166:167], v[204:207]// 000000007A74: D3F300CC 0F334D92
	buffer_load_dword v12, v5, s[16:19], 0 offen               // 000000007A7C: E0501000 80040C05
	v_mfma_f32_16x16x32_fp8_fp8 v[208:211], a[148:149], v[144:145], v[208:211]// 000000007A84: D3F300D0 0F432194
	v_mfma_f32_16x16x32_fp8_fp8 v[208:211], a[150:151], v[146:147], v[208:211]// 000000007A8C: D3F300D0 0F432596
	buffer_load_dwordx4 a[68:71], v47, s[12:15], 0 offen       // 000000007A94: E05C1000 8083442F
	v_mfma_f32_16x16x32_fp8_fp8 v[212:215], a[148:149], v[164:165], v[212:215]// 000000007A9C: D3F300D4 0F534994
	v_mfma_f32_16x16x32_fp8_fp8 v[212:215], a[150:151], v[166:167], v[212:215]// 000000007AA4: D3F300D4 0F534D96
	v_mfma_f32_16x16x32_fp8_fp8 v[216:219], a[152:153], v[144:145], v[216:219]// 000000007AAC: D3F300D8 0F632198
	v_mfma_f32_16x16x32_fp8_fp8 v[216:219], a[154:155], v[146:147], v[216:219]// 000000007AB4: D3F300D8 0F63259A
	buffer_load_dwordx4 a[72:75], v48, s[12:15], 0 offen       // 000000007ABC: E05C1000 80834830
	v_mfma_f32_16x16x32_fp8_fp8 v[220:223], a[152:153], v[164:165], v[220:223]// 000000007AC4: D3F300DC 0F734998
	v_mfma_f32_16x16x32_fp8_fp8 v[220:223], a[154:155], v[166:167], v[220:223]// 000000007ACC: D3F300DC 0F734D9A
	v_mfma_f32_16x16x32_fp8_fp8 v[224:227], a[156:157], v[144:145], v[224:227]// 000000007AD4: D3F300E0 0F83219C
	v_mfma_f32_16x16x32_fp8_fp8 v[224:227], a[158:159], v[146:147], v[224:227]// 000000007ADC: D3F300E0 0F83259E
	buffer_load_dwordx4 a[76:79], v49, s[12:15], 0 offen       // 000000007AE4: E05C1000 80834C31
	v_mfma_f32_16x16x32_fp8_fp8 v[228:231], a[156:157], v[164:165], v[228:231]// 000000007AEC: D3F300E4 0F93499C
	v_mfma_f32_16x16x32_fp8_fp8 v[228:231], a[158:159], v[166:167], v[228:231]// 000000007AF4: D3F300E4 0F934D9E
	s_add_u32 s60, 0x200, s80                                  // 000000007AFC: 803C50FF 00000200
	s_cmp_lt_u32 s60, s81                                      // 000000007B04: BF0A513C
	s_cselect_b32 s56, s56, 0                                  // 000000007B08: 85388038
	s_cselect_b32 s78, s78, 0                                  // 000000007B0C: 854E804E
	s_cselect_b32 s79, s79, 0                                  // 000000007B10: 854F804F
	s_add_u32 s12, s56, s12                                    // 000000007B14: 800C0C38
	s_addc_u32 s13, 0, s13                                     // 000000007B18: 820D0D80
	s_add_u32 s16, s79, s16                                    // 000000007B1C: 8010104F
	s_addc_u32 s17, 0, s17                                     // 000000007B20: 82111180
	v_mov_b32_e32 v42, v24                                     // 000000007B24: 7E540318
	v_mov_b32_e32 v44, v20                                     // 000000007B28: 7E580314
	v_mov_b32_e32 v43, v42                                     // 000000007B2C: 7E56032A
	v_mov_b32_e32 v45, v44                                     // 000000007B30: 7E5A032C
	v_pk_mul_f32 v[200:201], v[42:43], v[200:201]              // 000000007B34: D3B140C8 1803912A
	v_pk_mul_f32 v[202:203], v[42:43], v[202:203]              // 000000007B3C: D3B140CA 1803952A
	v_mul_f32_dpp v200, v13, v200 row_newbcast:0 row_mask:0xf bank_mask:0xf// 000000007B44: 0B9190FA FF01500D
	v_mul_f32_dpp v201, v13, v201 row_newbcast:1 row_mask:0xf bank_mask:0xf// 000000007B4C: 0B9392FA FF01510D
	v_mul_f32_dpp v202, v13, v202 row_newbcast:2 row_mask:0xf bank_mask:0xf// 000000007B54: 0B9594FA FF01520D
	v_mul_f32_dpp v203, v13, v203 row_newbcast:3 row_mask:0xf bank_mask:0xf// 000000007B5C: 0B9796FA FF01530D
	v_pk_mul_f32 v[200:201], v[44:45], v[200:201]              // 000000007B64: D3B140C8 1803912C
	v_pk_mul_f32 v[202:203], v[44:45], v[202:203]              // 000000007B6C: D3B140CA 1803952C
	v_pk_mul_f32 v[208:209], v[42:43], v[208:209]              // 000000007B74: D3B140D0 1803A12A
	v_pk_mul_f32 v[210:211], v[42:43], v[210:211]              // 000000007B7C: D3B140D2 1803A52A
	v_mul_f32_dpp v208, v13, v208 row_newbcast:4 row_mask:0xf bank_mask:0xf// 000000007B84: 0BA1A0FA FF01540D
	v_mul_f32_dpp v209, v13, v209 row_newbcast:5 row_mask:0xf bank_mask:0xf// 000000007B8C: 0BA3A2FA FF01550D
	v_mul_f32_dpp v210, v13, v210 row_newbcast:6 row_mask:0xf bank_mask:0xf// 000000007B94: 0BA5A4FA FF01560D
	v_mul_f32_dpp v211, v13, v211 row_newbcast:7 row_mask:0xf bank_mask:0xf// 000000007B9C: 0BA7A6FA FF01570D
	v_pk_mul_f32 v[208:209], v[44:45], v[208:209]              // 000000007BA4: D3B140D0 1803A12C
	v_pk_mul_f32 v[210:211], v[44:45], v[210:211]              // 000000007BAC: D3B140D2 1803A52C
	v_pk_mul_f32 v[216:217], v[42:43], v[216:217]              // 000000007BB4: D3B140D8 1803B12A
	v_pk_mul_f32 v[218:219], v[42:43], v[218:219]              // 000000007BBC: D3B140DA 1803B52A
	v_mul_f32_dpp v216, v13, v216 row_newbcast:8 row_mask:0xf bank_mask:0xf// 000000007BC4: 0BB1B0FA FF01580D
	v_mul_f32_dpp v217, v13, v217 row_newbcast:9 row_mask:0xf bank_mask:0xf// 000000007BCC: 0BB3B2FA FF01590D
	v_mul_f32_dpp v218, v13, v218 row_newbcast:10 row_mask:0xf bank_mask:0xf// 000000007BD4: 0BB5B4FA FF015A0D
	v_mul_f32_dpp v219, v13, v219 row_newbcast:11 row_mask:0xf bank_mask:0xf// 000000007BDC: 0BB7B6FA FF015B0D
	v_pk_mul_f32 v[216:217], v[44:45], v[216:217]              // 000000007BE4: D3B140D8 1803B12C
	v_pk_mul_f32 v[218:219], v[44:45], v[218:219]              // 000000007BEC: D3B140DA 1803B52C
	v_pk_mul_f32 v[224:225], v[42:43], v[224:225]              // 000000007BF4: D3B140E0 1803C12A
	v_pk_mul_f32 v[226:227], v[42:43], v[226:227]              // 000000007BFC: D3B140E2 1803C52A
	v_mul_f32_dpp v224, v13, v224 row_newbcast:12 row_mask:0xf bank_mask:0xf// 000000007C04: 0BC1C0FA FF015C0D
	v_mul_f32_dpp v225, v13, v225 row_newbcast:13 row_mask:0xf bank_mask:0xf// 000000007C0C: 0BC3C2FA FF015D0D
	v_mul_f32_dpp v226, v13, v226 row_newbcast:14 row_mask:0xf bank_mask:0xf// 000000007C14: 0BC5C4FA FF015E0D
	v_mul_f32_dpp v227, v13, v227 row_newbcast:15 row_mask:0xf bank_mask:0xf// 000000007C1C: 0BC7C6FA FF015F0D
	v_pk_mul_f32 v[224:225], v[44:45], v[224:225]              // 000000007C24: D3B140E0 1803C12C
	v_pk_mul_f32 v[226:227], v[44:45], v[226:227]              // 000000007C2C: D3B140E2 1803C52C
	v_mov_b32_e32 v42, v25                                     // 000000007C34: 7E540319
	v_mov_b32_e32 v44, v21                                     // 000000007C38: 7E580315
	v_mov_b32_e32 v43, v42                                     // 000000007C3C: 7E56032A
	v_mov_b32_e32 v45, v44                                     // 000000007C40: 7E5A032C
	v_pk_mul_f32 v[204:205], v[42:43], v[204:205]              // 000000007C44: D3B140CC 1803992A
	v_pk_mul_f32 v[206:207], v[42:43], v[206:207]              // 000000007C4C: D3B140CE 18039D2A
	v_mul_f32_dpp v204, v13, v204 row_newbcast:0 row_mask:0xf bank_mask:0xf// 000000007C54: 0B9998FA FF01500D
	v_mul_f32_dpp v205, v13, v205 row_newbcast:1 row_mask:0xf bank_mask:0xf// 000000007C5C: 0B9B9AFA FF01510D
	v_mul_f32_dpp v206, v13, v206 row_newbcast:2 row_mask:0xf bank_mask:0xf// 000000007C64: 0B9D9CFA FF01520D
	v_mul_f32_dpp v207, v13, v207 row_newbcast:3 row_mask:0xf bank_mask:0xf// 000000007C6C: 0B9F9EFA FF01530D
	v_pk_mul_f32 v[204:205], v[44:45], v[204:205]              // 000000007C74: D3B140CC 1803992C
	v_pk_mul_f32 v[206:207], v[44:45], v[206:207]              // 000000007C7C: D3B140CE 18039D2C
	v_pk_mul_f32 v[212:213], v[42:43], v[212:213]              // 000000007C84: D3B140D4 1803A92A
	v_pk_mul_f32 v[214:215], v[42:43], v[214:215]              // 000000007C8C: D3B140D6 1803AD2A
	v_mul_f32_dpp v212, v13, v212 row_newbcast:4 row_mask:0xf bank_mask:0xf// 000000007C94: 0BA9A8FA FF01540D
	v_mul_f32_dpp v213, v13, v213 row_newbcast:5 row_mask:0xf bank_mask:0xf// 000000007C9C: 0BABAAFA FF01550D
	v_mul_f32_dpp v214, v13, v214 row_newbcast:6 row_mask:0xf bank_mask:0xf// 000000007CA4: 0BADACFA FF01560D
	v_mul_f32_dpp v215, v13, v215 row_newbcast:7 row_mask:0xf bank_mask:0xf// 000000007CAC: 0BAFAEFA FF01570D
	v_pk_mul_f32 v[212:213], v[44:45], v[212:213]              // 000000007CB4: D3B140D4 1803A92C
	v_pk_mul_f32 v[214:215], v[44:45], v[214:215]              // 000000007CBC: D3B140D6 1803AD2C
	v_pk_mul_f32 v[220:221], v[42:43], v[220:221]              // 000000007CC4: D3B140DC 1803B92A
	v_pk_mul_f32 v[222:223], v[42:43], v[222:223]              // 000000007CCC: D3B140DE 1803BD2A
	v_mul_f32_dpp v220, v13, v220 row_newbcast:8 row_mask:0xf bank_mask:0xf// 000000007CD4: 0BB9B8FA FF01580D
	v_mul_f32_dpp v221, v13, v221 row_newbcast:9 row_mask:0xf bank_mask:0xf// 000000007CDC: 0BBBBAFA FF01590D
	v_mul_f32_dpp v222, v13, v222 row_newbcast:10 row_mask:0xf bank_mask:0xf// 000000007CE4: 0BBDBCFA FF015A0D
	v_mul_f32_dpp v223, v13, v223 row_newbcast:11 row_mask:0xf bank_mask:0xf// 000000007CEC: 0BBFBEFA FF015B0D
	v_pk_mul_f32 v[220:221], v[44:45], v[220:221]              // 000000007CF4: D3B140DC 1803B92C
	v_pk_mul_f32 v[222:223], v[44:45], v[222:223]              // 000000007CFC: D3B140DE 1803BD2C
	v_pk_mul_f32 v[228:229], v[42:43], v[228:229]              // 000000007D04: D3B140E4 1803C92A
	v_pk_mul_f32 v[230:231], v[42:43], v[230:231]              // 000000007D0C: D3B140E6 1803CD2A
	v_mul_f32_dpp v228, v13, v228 row_newbcast:12 row_mask:0xf bank_mask:0xf// 000000007D14: 0BC9C8FA FF015C0D
	v_mul_f32_dpp v229, v13, v229 row_newbcast:13 row_mask:0xf bank_mask:0xf// 000000007D1C: 0BCBCAFA FF015D0D
	v_mul_f32_dpp v230, v13, v230 row_newbcast:14 row_mask:0xf bank_mask:0xf// 000000007D24: 0BCDCCFA FF015E0D
	v_mul_f32_dpp v231, v13, v231 row_newbcast:15 row_mask:0xf bank_mask:0xf// 000000007D2C: 0BCFCEFA FF015F0D
	v_pk_mul_f32 v[228:229], v[44:45], v[228:229]              // 000000007D34: D3B140E4 1803C92C
	v_pk_mul_f32 v[230:231], v[44:45], v[230:231]              // 000000007D3C: D3B140E6 1803CD2C
	v_cmp_u_f32_e64 s[48:49], v200, v200                       // 000000007D44: D0480030 000391C8
	v_add3_u32 v50, v200, v53, 1                               // 000000007D4C: D1FF0032 02066BC8
	v_cndmask_b32_e64 v42, v50, v52, s[48:49]                  // 000000007D54: D100002A 00C26932
	v_cmp_u_f32_e64 s[48:49], v201, v201                       // 000000007D5C: D0480030 000393C9
	v_add3_u32 v50, v201, v53, 1                               // 000000007D64: D1FF0032 02066BC9
	v_cndmask_b32_e64 v43, v50, v52, s[48:49]                  // 000000007D6C: D100002B 00C26932
	v_perm_b32 v200, v43, v42, s52                             // 000000007D74: D1ED00C8 00D2552B
	v_cmp_u_f32_e64 s[48:49], v202, v202                       // 000000007D7C: D0480030 000395CA
	v_add3_u32 v50, v202, v53, 1                               // 000000007D84: D1FF0032 02066BCA
	v_cndmask_b32_e64 v42, v50, v52, s[48:49]                  // 000000007D8C: D100002A 00C26932
	v_cmp_u_f32_e64 s[48:49], v203, v203                       // 000000007D94: D0480030 000397CB
	v_add3_u32 v50, v203, v53, 1                               // 000000007D9C: D1FF0032 02066BCB
	v_cndmask_b32_e64 v43, v50, v52, s[48:49]                  // 000000007DA4: D100002B 00C26932
	v_perm_b32 v201, v43, v42, s52                             // 000000007DAC: D1ED00C9 00D2552B
	v_cmp_u_f32_e64 s[48:49], v204, v204                       // 000000007DB4: D0480030 000399CC
	v_add3_u32 v50, v204, v53, 1                               // 000000007DBC: D1FF0032 02066BCC
	v_cndmask_b32_e64 v42, v50, v52, s[48:49]                  // 000000007DC4: D100002A 00C26932
	v_cmp_u_f32_e64 s[48:49], v205, v205                       // 000000007DCC: D0480030 00039BCD
	v_add3_u32 v50, v205, v53, 1                               // 000000007DD4: D1FF0032 02066BCD
	v_cndmask_b32_e64 v43, v50, v52, s[48:49]                  // 000000007DDC: D100002B 00C26932
	v_perm_b32 v202, v43, v42, s52                             // 000000007DE4: D1ED00CA 00D2552B
	v_cmp_u_f32_e64 s[48:49], v206, v206                       // 000000007DEC: D0480030 00039DCE
	v_add3_u32 v50, v206, v53, 1                               // 000000007DF4: D1FF0032 02066BCE
	v_cndmask_b32_e64 v42, v50, v52, s[48:49]                  // 000000007DFC: D100002A 00C26932
	v_cmp_u_f32_e64 s[48:49], v207, v207                       // 000000007E04: D0480030 00039FCF
	v_add3_u32 v50, v207, v53, 1                               // 000000007E0C: D1FF0032 02066BCF
	v_cndmask_b32_e64 v43, v50, v52, s[48:49]                  // 000000007E14: D100002B 00C26932
	v_perm_b32 v203, v43, v42, s52                             // 000000007E1C: D1ED00CB 00D2552B
	v_cmp_u_f32_e64 s[48:49], v208, v208                       // 000000007E24: D0480030 0003A1D0
	v_add3_u32 v50, v208, v53, 1                               // 000000007E2C: D1FF0032 02066BD0
	v_cndmask_b32_e64 v42, v50, v52, s[48:49]                  // 000000007E34: D100002A 00C26932
	v_cmp_u_f32_e64 s[48:49], v209, v209                       // 000000007E3C: D0480030 0003A3D1
	v_add3_u32 v50, v209, v53, 1                               // 000000007E44: D1FF0032 02066BD1
	v_cndmask_b32_e64 v43, v50, v52, s[48:49]                  // 000000007E4C: D100002B 00C26932
	v_perm_b32 v204, v43, v42, s52                             // 000000007E54: D1ED00CC 00D2552B
	v_cmp_u_f32_e64 s[48:49], v210, v210                       // 000000007E5C: D0480030 0003A5D2
	v_add3_u32 v50, v210, v53, 1                               // 000000007E64: D1FF0032 02066BD2
	v_cndmask_b32_e64 v42, v50, v52, s[48:49]                  // 000000007E6C: D100002A 00C26932
	v_cmp_u_f32_e64 s[48:49], v211, v211                       // 000000007E74: D0480030 0003A7D3
	v_add3_u32 v50, v211, v53, 1                               // 000000007E7C: D1FF0032 02066BD3
	v_cndmask_b32_e64 v43, v50, v52, s[48:49]                  // 000000007E84: D100002B 00C26932
	v_perm_b32 v205, v43, v42, s52                             // 000000007E8C: D1ED00CD 00D2552B
	v_cmp_u_f32_e64 s[48:49], v212, v212                       // 000000007E94: D0480030 0003A9D4
	v_add3_u32 v50, v212, v53, 1                               // 000000007E9C: D1FF0032 02066BD4
	v_cndmask_b32_e64 v42, v50, v52, s[48:49]                  // 000000007EA4: D100002A 00C26932
	v_cmp_u_f32_e64 s[48:49], v213, v213                       // 000000007EAC: D0480030 0003ABD5
	v_add3_u32 v50, v213, v53, 1                               // 000000007EB4: D1FF0032 02066BD5
	v_cndmask_b32_e64 v43, v50, v52, s[48:49]                  // 000000007EBC: D100002B 00C26932
	v_perm_b32 v206, v43, v42, s52                             // 000000007EC4: D1ED00CE 00D2552B
	v_cmp_u_f32_e64 s[48:49], v214, v214                       // 000000007ECC: D0480030 0003ADD6
	v_add3_u32 v50, v214, v53, 1                               // 000000007ED4: D1FF0032 02066BD6
	v_cndmask_b32_e64 v42, v50, v52, s[48:49]                  // 000000007EDC: D100002A 00C26932
	v_cmp_u_f32_e64 s[48:49], v215, v215                       // 000000007EE4: D0480030 0003AFD7
	v_add3_u32 v50, v215, v53, 1                               // 000000007EEC: D1FF0032 02066BD7
	v_cndmask_b32_e64 v43, v50, v52, s[48:49]                  // 000000007EF4: D100002B 00C26932
	v_perm_b32 v207, v43, v42, s52                             // 000000007EFC: D1ED00CF 00D2552B
	v_cmp_u_f32_e64 s[48:49], v216, v216                       // 000000007F04: D0480030 0003B1D8
	v_add3_u32 v50, v216, v53, 1                               // 000000007F0C: D1FF0032 02066BD8
	v_cndmask_b32_e64 v42, v50, v52, s[48:49]                  // 000000007F14: D100002A 00C26932
	v_cmp_u_f32_e64 s[48:49], v217, v217                       // 000000007F1C: D0480030 0003B3D9
	v_add3_u32 v50, v217, v53, 1                               // 000000007F24: D1FF0032 02066BD9
	v_cndmask_b32_e64 v43, v50, v52, s[48:49]                  // 000000007F2C: D100002B 00C26932
	v_perm_b32 v208, v43, v42, s52                             // 000000007F34: D1ED00D0 00D2552B
	v_cmp_u_f32_e64 s[48:49], v218, v218                       // 000000007F3C: D0480030 0003B5DA
	v_add3_u32 v50, v218, v53, 1                               // 000000007F44: D1FF0032 02066BDA
	v_cndmask_b32_e64 v42, v50, v52, s[48:49]                  // 000000007F4C: D100002A 00C26932
	v_cmp_u_f32_e64 s[48:49], v219, v219                       // 000000007F54: D0480030 0003B7DB
	v_add3_u32 v50, v219, v53, 1                               // 000000007F5C: D1FF0032 02066BDB
	v_cndmask_b32_e64 v43, v50, v52, s[48:49]                  // 000000007F64: D100002B 00C26932
	v_perm_b32 v209, v43, v42, s52                             // 000000007F6C: D1ED00D1 00D2552B
	v_cmp_u_f32_e64 s[48:49], v220, v220                       // 000000007F74: D0480030 0003B9DC
	v_add3_u32 v50, v220, v53, 1                               // 000000007F7C: D1FF0032 02066BDC
	v_cndmask_b32_e64 v42, v50, v52, s[48:49]                  // 000000007F84: D100002A 00C26932
	v_cmp_u_f32_e64 s[48:49], v221, v221                       // 000000007F8C: D0480030 0003BBDD
	v_add3_u32 v50, v221, v53, 1                               // 000000007F94: D1FF0032 02066BDD
	v_cndmask_b32_e64 v43, v50, v52, s[48:49]                  // 000000007F9C: D100002B 00C26932
	v_perm_b32 v210, v43, v42, s52                             // 000000007FA4: D1ED00D2 00D2552B
	v_cmp_u_f32_e64 s[48:49], v222, v222                       // 000000007FAC: D0480030 0003BDDE
	v_add3_u32 v50, v222, v53, 1                               // 000000007FB4: D1FF0032 02066BDE
	v_cndmask_b32_e64 v42, v50, v52, s[48:49]                  // 000000007FBC: D100002A 00C26932
	v_cmp_u_f32_e64 s[48:49], v223, v223                       // 000000007FC4: D0480030 0003BFDF
	v_add3_u32 v50, v223, v53, 1                               // 000000007FCC: D1FF0032 02066BDF
	v_cndmask_b32_e64 v43, v50, v52, s[48:49]                  // 000000007FD4: D100002B 00C26932
	v_perm_b32 v211, v43, v42, s52                             // 000000007FDC: D1ED00D3 00D2552B
	v_cmp_u_f32_e64 s[48:49], v224, v224                       // 000000007FE4: D0480030 0003C1E0
	v_add3_u32 v50, v224, v53, 1                               // 000000007FEC: D1FF0032 02066BE0
	v_cndmask_b32_e64 v42, v50, v52, s[48:49]                  // 000000007FF4: D100002A 00C26932
	v_cmp_u_f32_e64 s[48:49], v225, v225                       // 000000007FFC: D0480030 0003C3E1
	v_add3_u32 v50, v225, v53, 1                               // 000000008004: D1FF0032 02066BE1
	v_cndmask_b32_e64 v43, v50, v52, s[48:49]                  // 00000000800C: D100002B 00C26932
	v_perm_b32 v212, v43, v42, s52                             // 000000008014: D1ED00D4 00D2552B
	v_cmp_u_f32_e64 s[48:49], v226, v226                       // 00000000801C: D0480030 0003C5E2
	v_add3_u32 v50, v226, v53, 1                               // 000000008024: D1FF0032 02066BE2
	v_cndmask_b32_e64 v42, v50, v52, s[48:49]                  // 00000000802C: D100002A 00C26932
	v_cmp_u_f32_e64 s[48:49], v227, v227                       // 000000008034: D0480030 0003C7E3
	v_add3_u32 v50, v227, v53, 1                               // 00000000803C: D1FF0032 02066BE3
	v_cndmask_b32_e64 v43, v50, v52, s[48:49]                  // 000000008044: D100002B 00C26932
	v_perm_b32 v213, v43, v42, s52                             // 00000000804C: D1ED00D5 00D2552B
	v_cmp_u_f32_e64 s[48:49], v228, v228                       // 000000008054: D0480030 0003C9E4
	v_add3_u32 v50, v228, v53, 1                               // 00000000805C: D1FF0032 02066BE4
	v_cndmask_b32_e64 v42, v50, v52, s[48:49]                  // 000000008064: D100002A 00C26932
	v_cmp_u_f32_e64 s[48:49], v229, v229                       // 00000000806C: D0480030 0003CBE5
	v_add3_u32 v50, v229, v53, 1                               // 000000008074: D1FF0032 02066BE5
	v_cndmask_b32_e64 v43, v50, v52, s[48:49]                  // 00000000807C: D100002B 00C26932
	v_perm_b32 v214, v43, v42, s52                             // 000000008084: D1ED00D6 00D2552B
	v_cmp_u_f32_e64 s[48:49], v230, v230                       // 00000000808C: D0480030 0003CDE6
	v_add3_u32 v50, v230, v53, 1                               // 000000008094: D1FF0032 02066BE6
	v_cndmask_b32_e64 v42, v50, v52, s[48:49]                  // 00000000809C: D100002A 00C26932
	v_cmp_u_f32_e64 s[48:49], v231, v231                       // 0000000080A4: D0480030 0003CFE7
	v_add3_u32 v50, v231, v53, 1                               // 0000000080AC: D1FF0032 02066BE7
	v_cndmask_b32_e64 v43, v50, v52, s[48:49]                  // 0000000080B4: D100002B 00C26932
	v_perm_b32 v215, v43, v42, s52                             // 0000000080BC: D1ED00D7 00D2552B
	ds_write_b64 v3, v[200:201] offset:2048                    // 0000000080C4: D89A0800 0000C803
	ds_write_b64 v3, v[202:203] offset:10752                   // 0000000080CC: D89A2A00 0000CA03
	ds_write_b64 v3, v[204:205] offset:4224                    // 0000000080D4: D89A1080 0000CC03
	ds_write_b64 v3, v[206:207] offset:12928                   // 0000000080DC: D89A3280 0000CE03
	ds_write_b64 v3, v[208:209] offset:6400                    // 0000000080E4: D89A1900 0000D003
	ds_write_b64 v3, v[210:211] offset:15104                   // 0000000080EC: D89A3B00 0000D203
	ds_write_b64 v3, v[212:213] offset:8576                    // 0000000080F4: D89A2180 0000D403
	ds_write_b64 v3, v[214:215] offset:17280                   // 0000000080FC: D89A4380 0000D603
	s_waitcnt lgkmcnt(0)                                       // 000000008104: BF8CC07F
	s_barrier                                                  // 000000008108: BF8A0000
	ds_read_b32 v64, v4 offset:2048                            // 00000000810C: D86C0800 40000004
	ds_read_b32 v65, v4 offset:6400                            // 000000008114: D86C1900 41000004
	ds_read_b32 v66, v4 offset:2080                            // 00000000811C: D86C0820 42000004
	ds_read_b32 v67, v4 offset:6432                            // 000000008124: D86C1920 43000004
	ds_read_b32 v68, v4 offset:2112                            // 00000000812C: D86C0840 44000004
	ds_read_b32 v69, v4 offset:6464                            // 000000008134: D86C1940 45000004
	ds_read_b32 v70, v4 offset:2144                            // 00000000813C: D86C0860 46000004
	ds_read_b32 v71, v4 offset:6496                            // 000000008144: D86C1960 47000004
	ds_read_b32 v72, v4 offset:10752                           // 00000000814C: D86C2A00 48000004
	ds_read_b32 v73, v4 offset:15104                           // 000000008154: D86C3B00 49000004
	ds_read_b32 v74, v4 offset:10784                           // 00000000815C: D86C2A20 4A000004
	ds_read_b32 v75, v4 offset:15136                           // 000000008164: D86C3B20 4B000004
	ds_read_b32 v76, v4 offset:10816                           // 00000000816C: D86C2A40 4C000004
	ds_read_b32 v77, v4 offset:15168                           // 000000008174: D86C3B40 4D000004
	ds_read_b32 v78, v4 offset:10848                           // 00000000817C: D86C2A60 4E000004
	ds_read_b32 v79, v4 offset:15200                           // 000000008184: D86C3B60 4F000004
	s_waitcnt lgkmcnt(0)                                       // 00000000818C: BF8CC07F
	s_mov_b64 exec, s[20:21]                                   // 000000008190: BEFE0114
	global_atomic_pk_add_bf16 v80, v64, s[8:9]                 // 000000008194: DD488000 00084050
	s_mov_b64 exec, s[36:37]                                   // 00000000819C: BEFE0124
	s_mov_b64 exec, s[20:21]                                   // 0000000081A0: BEFE0114
	global_atomic_pk_add_bf16 v80, v65, s[8:9] offset:256      // 0000000081A4: DD488100 00084150
	s_mov_b64 exec, s[36:37]                                   // 0000000081AC: BEFE0124
	s_mov_b64 exec, s[22:23]                                   // 0000000081B0: BEFE0116
	global_atomic_pk_add_bf16 v82, v66, s[8:9]                 // 0000000081B4: DD488000 00084252
	s_mov_b64 exec, s[36:37]                                   // 0000000081BC: BEFE0124
	s_mov_b64 exec, s[22:23]                                   // 0000000081C0: BEFE0116
	global_atomic_pk_add_bf16 v82, v67, s[8:9] offset:256      // 0000000081C4: DD488100 00084352
	s_mov_b64 exec, s[36:37]                                   // 0000000081CC: BEFE0124
	s_mov_b64 exec, s[24:25]                                   // 0000000081D0: BEFE0118
	global_atomic_pk_add_bf16 v84, v68, s[8:9]                 // 0000000081D4: DD488000 00084454
	s_mov_b64 exec, s[36:37]                                   // 0000000081DC: BEFE0124
	s_mov_b64 exec, s[24:25]                                   // 0000000081E0: BEFE0118
	global_atomic_pk_add_bf16 v84, v69, s[8:9] offset:256      // 0000000081E4: DD488100 00084554
	s_mov_b64 exec, s[36:37]                                   // 0000000081EC: BEFE0124
	s_mov_b64 exec, s[26:27]                                   // 0000000081F0: BEFE011A
	global_atomic_pk_add_bf16 v86, v70, s[8:9]                 // 0000000081F4: DD488000 00084656
	s_mov_b64 exec, s[36:37]                                   // 0000000081FC: BEFE0124
	s_mov_b64 exec, s[26:27]                                   // 000000008200: BEFE011A
	global_atomic_pk_add_bf16 v86, v71, s[8:9] offset:256      // 000000008204: DD488100 00084756
	s_mov_b64 exec, s[36:37]                                   // 00000000820C: BEFE0124
	s_mov_b64 exec, s[28:29]                                   // 000000008210: BEFE011C
	global_atomic_pk_add_bf16 v88, v72, s[8:9]                 // 000000008214: DD488000 00084858
	s_mov_b64 exec, s[36:37]                                   // 00000000821C: BEFE0124
	s_mov_b64 exec, s[28:29]                                   // 000000008220: BEFE011C
	global_atomic_pk_add_bf16 v88, v73, s[8:9] offset:256      // 000000008224: DD488100 00084958
	s_mov_b64 exec, s[36:37]                                   // 00000000822C: BEFE0124
	s_mov_b64 exec, s[30:31]                                   // 000000008230: BEFE011E
	global_atomic_pk_add_bf16 v90, v74, s[8:9]                 // 000000008234: DD488000 00084A5A
	s_mov_b64 exec, s[36:37]                                   // 00000000823C: BEFE0124
	s_mov_b64 exec, s[30:31]                                   // 000000008240: BEFE011E
	global_atomic_pk_add_bf16 v90, v75, s[8:9] offset:256      // 000000008244: DD488100 00084B5A
	s_mov_b64 exec, s[36:37]                                   // 00000000824C: BEFE0124
	s_mov_b64 exec, s[32:33]                                   // 000000008250: BEFE0120
	global_atomic_pk_add_bf16 v92, v76, s[8:9]                 // 000000008254: DD488000 00084C5C
	s_mov_b64 exec, s[36:37]                                   // 00000000825C: BEFE0124
	s_mov_b64 exec, s[32:33]                                   // 000000008260: BEFE0120
	global_atomic_pk_add_bf16 v92, v77, s[8:9] offset:256      // 000000008264: DD488100 00084D5C
	s_mov_b64 exec, s[36:37]                                   // 00000000826C: BEFE0124
	s_mov_b64 exec, s[34:35]                                   // 000000008270: BEFE0122
	global_atomic_pk_add_bf16 v94, v78, s[8:9]                 // 000000008274: DD488000 00084E5E
	s_mov_b64 exec, s[36:37]                                   // 00000000827C: BEFE0124
	s_mov_b64 exec, s[34:35]                                   // 000000008280: BEFE0122
	global_atomic_pk_add_bf16 v94, v79, s[8:9] offset:256      // 000000008284: DD488100 00084F5E
	s_mov_b64 exec, s[36:37]                                   // 00000000828C: BEFE0124
	s_add_u32 s8, s59, s8                                      // 000000008290: 8008083B
	s_addc_u32 s9, 0, s9                                       // 000000008294: 82090980
	s_addk_i32 s80, 0x100                                      // 000000008298: B7500100
	s_cmp_lt_i32 s80, s81                                      // 00000000829C: BF045150
	s_cbranch_scc0 label_152A                                  // 0000000082A0: BF840001
	s_branch label_0FA5                                        // 0000000082A4: BF82FA7B

00000000000082a8 <label_152A>:
	s_nop 0                                                    // 0000000082A8: BF800000
	s_nop 0                                                    // 0000000082AC: BF800000
	s_branch label_2692                                        // 0000000082B0: BF821165

00000000000082b4 <label_152D>:
	v_rcp_f32_e32 v42, v24                                     // 0000000082B4: 7E544518
	v_rcp_f32_e32 v44, v25                                     // 0000000082B8: 7E584519
	v_mov_b32_e32 v43, v42                                     // 0000000082BC: 7E56032A
	v_mov_b32_e32 v45, v44                                     // 0000000082C0: 7E5A032C
	v_pk_mul_f32 v[128:129], v[42:43], v[128:129]              // 0000000082C4: D3B14080 1803012A
	v_pk_mul_f32 v[130:131], v[42:43], v[130:131]              // 0000000082CC: D3B14082 1803052A
	v_pk_mul_f32 v[132:133], v[44:45], v[132:133]              // 0000000082D4: D3B14084 1803092C
	v_pk_mul_f32 v[134:135], v[44:45], v[134:135]              // 0000000082DC: D3B14086 18030D2C
	v_pk_mul_f32 v[136:137], v[42:43], v[136:137]              // 0000000082E4: D3B14088 1803112A
	v_pk_mul_f32 v[138:139], v[42:43], v[138:139]              // 0000000082EC: D3B1408A 1803152A
	v_pk_mul_f32 v[140:141], v[44:45], v[140:141]              // 0000000082F4: D3B1408C 1803192C
	v_pk_mul_f32 v[142:143], v[44:45], v[142:143]              // 0000000082FC: D3B1408E 18031D2C
	v_pk_mul_f32 v[144:145], v[42:43], v[144:145]              // 000000008304: D3B14090 1803212A
	v_pk_mul_f32 v[146:147], v[42:43], v[146:147]              // 00000000830C: D3B14092 1803252A
	v_pk_mul_f32 v[148:149], v[44:45], v[148:149]              // 000000008314: D3B14094 1803292C
	v_pk_mul_f32 v[150:151], v[44:45], v[150:151]              // 00000000831C: D3B14096 18032D2C
	v_pk_mul_f32 v[152:153], v[42:43], v[152:153]              // 000000008324: D3B14098 1803312A
	v_pk_mul_f32 v[154:155], v[42:43], v[154:155]              // 00000000832C: D3B1409A 1803352A
	v_pk_mul_f32 v[156:157], v[44:45], v[156:157]              // 000000008334: D3B1409C 1803392C
	v_pk_mul_f32 v[158:159], v[44:45], v[158:159]              // 00000000833C: D3B1409E 18033D2C
	v_pk_mul_f32 v[160:161], v[42:43], v[160:161]              // 000000008344: D3B140A0 1803412A
	v_pk_mul_f32 v[162:163], v[42:43], v[162:163]              // 00000000834C: D3B140A2 1803452A
	v_pk_mul_f32 v[164:165], v[44:45], v[164:165]              // 000000008354: D3B140A4 1803492C
	v_pk_mul_f32 v[166:167], v[44:45], v[166:167]              // 00000000835C: D3B140A6 18034D2C
	s_waitcnt vmcnt(12) lgkmcnt(0)                             // 000000008364: BF8C007C
	s_barrier                                                  // 000000008368: BF8A0000
	v_mfma_f32_16x16x32_fp8_fp8 v[128:131], a[0:1], v[168:169], v[128:131]// 00000000836C: D3F30080 0E035100
	buffer_load_dwordx4 a[80:83], v36, s[92:95], 0 offen       // 000000008374: E05C1000 80975024
	v_mfma_f32_16x16x32_fp8_fp8 v[128:131], a[2:3], v[170:171], v[128:131]// 00000000837C: D3F30080 0E035502
	v_mfma_f32_16x16x32_fp8_fp8 v[128:131], a[4:5], v[172:173], v[128:131]// 000000008384: D3F30080 0E035904
	buffer_load_dword v28, s[20:23], 0 offen lds               // 00000000838C: E0511000 8005001C
	buffer_load_dword v28, s[20:23], 0 offen offset:256 lds    // 000000008394: E0511100 8005001C
	s_add_u32 m0, 0x820, s51                                   // 00000000839C: 807C33FF 00000820
	v_mfma_f32_16x16x32_fp8_fp8 v[128:131], a[6:7], v[174:175], v[128:131]// 0000000083A4: D3F30080 0E035D06
	v_mfma_f32_16x16x32_fp8_fp8 v[128:131], a[8:9], v[176:177], v[128:131]// 0000000083AC: D3F30080 0E036108
	buffer_load_dwordx4 a[84:87], v36, s[92:95], 0 offen offset:1024// 0000000083B4: E05C1400 80975424
	v_mfma_f32_16x16x32_fp8_fp8 v[128:131], a[10:11], v[178:179], v[128:131]// 0000000083BC: D3F30080 0E03650A
	v_mfma_f32_16x16x32_fp8_fp8 v[128:131], a[12:13], v[180:181], v[128:131]// 0000000083C4: D3F30080 0E03690C
	buffer_load_dword v29, s[20:23], 0 offen lds               // 0000000083CC: E0511000 8005001D
	buffer_load_dword v29, s[20:23], 0 offen offset:256 lds    // 0000000083D4: E0511100 8005001D
	s_add_u32 m0, 0x1040, s51                                  // 0000000083DC: 807C33FF 00001040
	v_mfma_f32_16x16x32_fp8_fp8 v[128:131], a[14:15], v[182:183], v[128:131]// 0000000083E4: D3F30080 0E036D0E
	v_mfma_f32_16x16x32_fp8_fp8 v[132:135], a[0:1], v[184:185], v[132:135]// 0000000083EC: D3F30084 0E137100
	buffer_load_dwordx4 a[88:91], v36, s[92:95], 0 offen offset:2048// 0000000083F4: E05C1800 80975824
	v_mfma_f32_16x16x32_fp8_fp8 v[132:135], a[2:3], v[186:187], v[132:135]// 0000000083FC: D3F30084 0E137502
	v_mfma_f32_16x16x32_fp8_fp8 v[132:135], a[4:5], v[188:189], v[132:135]// 000000008404: D3F30084 0E137904
	buffer_load_dword v30, s[20:23], 0 offen lds               // 00000000840C: E0511000 8005001E
	buffer_load_dword v30, s[20:23], 0 offen offset:256 lds    // 000000008414: E0511100 8005001E
	s_add_u32 m0, 0x1860, s51                                  // 00000000841C: 807C33FF 00001860
	v_mfma_f32_16x16x32_fp8_fp8 v[132:135], a[6:7], v[190:191], v[132:135]// 000000008424: D3F30084 0E137D06
	v_mfma_f32_16x16x32_fp8_fp8 v[132:135], a[8:9], v[192:193], v[132:135]// 00000000842C: D3F30084 0E138108
	buffer_load_dwordx4 a[92:95], v36, s[92:95], 0 offen offset:3072// 000000008434: E05C1C00 80975C24
	v_mfma_f32_16x16x32_fp8_fp8 v[132:135], a[10:11], v[194:195], v[132:135]// 00000000843C: D3F30084 0E13850A
	v_mfma_f32_16x16x32_fp8_fp8 v[132:135], a[12:13], v[196:197], v[132:135]// 000000008444: D3F30084 0E13890C
	buffer_load_dword v31, s[20:23], 0 offen lds               // 00000000844C: E0511000 8005001F
	buffer_load_dword v31, s[20:23], 0 offen offset:256 lds    // 000000008454: E0511100 8005001F
	s_add_u32 m0, 0x2080, s51                                  // 00000000845C: 807C33FF 00002080
	v_mfma_f32_16x16x32_fp8_fp8 v[132:135], a[14:15], v[198:199], v[132:135]// 000000008464: D3F30084 0E138D0E
	v_mfma_f32_16x16x32_fp8_fp8 v[136:139], a[16:17], v[168:169], v[136:139]// 00000000846C: D3F30088 0E235110
	buffer_load_dwordx4 a[96:99], v37, s[92:95], 0 offen       // 000000008474: E05C1000 80976025
	v_mfma_f32_16x16x32_fp8_fp8 v[136:139], a[18:19], v[170:171], v[136:139]// 00000000847C: D3F30088 0E235512
	v_mfma_f32_16x16x32_fp8_fp8 v[136:139], a[20:21], v[172:173], v[136:139]// 000000008484: D3F30088 0E235914
	buffer_load_dword v32, s[20:23], 0 offen lds               // 00000000848C: E0511000 80050020
	buffer_load_dword v32, s[20:23], 0 offen offset:256 lds    // 000000008494: E0511100 80050020
	s_add_u32 m0, 0x28a0, s51                                  // 00000000849C: 807C33FF 000028A0
	v_mfma_f32_16x16x32_fp8_fp8 v[136:139], a[22:23], v[174:175], v[136:139]// 0000000084A4: D3F30088 0E235D16
	v_mfma_f32_16x16x32_fp8_fp8 v[136:139], a[24:25], v[176:177], v[136:139]// 0000000084AC: D3F30088 0E236118
	buffer_load_dwordx4 a[100:103], v37, s[92:95], 0 offen offset:1024// 0000000084B4: E05C1400 80976425
	v_mfma_f32_16x16x32_fp8_fp8 v[136:139], a[26:27], v[178:179], v[136:139]// 0000000084BC: D3F30088 0E23651A
	v_mfma_f32_16x16x32_fp8_fp8 v[136:139], a[28:29], v[180:181], v[136:139]// 0000000084C4: D3F30088 0E23691C
	buffer_load_dword v33, s[20:23], 0 offen lds               // 0000000084CC: E0511000 80050021
	buffer_load_dword v33, s[20:23], 0 offen offset:256 lds    // 0000000084D4: E0511100 80050021
	s_add_u32 m0, 0x30c0, s51                                  // 0000000084DC: 807C33FF 000030C0
	v_mfma_f32_16x16x32_fp8_fp8 v[136:139], a[30:31], v[182:183], v[136:139]// 0000000084E4: D3F30088 0E236D1E
	v_mfma_f32_16x16x32_fp8_fp8 v[140:143], a[16:17], v[184:185], v[140:143]// 0000000084EC: D3F3008C 0E337110
	buffer_load_dwordx4 a[104:107], v37, s[92:95], 0 offen offset:2048// 0000000084F4: E05C1800 80976825
	v_mfma_f32_16x16x32_fp8_fp8 v[140:143], a[18:19], v[186:187], v[140:143]// 0000000084FC: D3F3008C 0E337512
	v_mfma_f32_16x16x32_fp8_fp8 v[140:143], a[20:21], v[188:189], v[140:143]// 000000008504: D3F3008C 0E337914
	buffer_load_dword v34, s[20:23], 0 offen lds               // 00000000850C: E0511000 80050022
	buffer_load_dword v34, s[20:23], 0 offen offset:256 lds    // 000000008514: E0511100 80050022
	s_add_u32 m0, 0x38e0, s51                                  // 00000000851C: 807C33FF 000038E0
	v_mfma_f32_16x16x32_fp8_fp8 v[140:143], a[22:23], v[190:191], v[140:143]// 000000008524: D3F3008C 0E337D16
	v_mfma_f32_16x16x32_fp8_fp8 v[140:143], a[24:25], v[192:193], v[140:143]// 00000000852C: D3F3008C 0E338118
	buffer_load_dwordx4 a[108:111], v37, s[92:95], 0 offen offset:3072// 000000008534: E05C1C00 80976C25
	v_mfma_f32_16x16x32_fp8_fp8 v[140:143], a[26:27], v[194:195], v[140:143]// 00000000853C: D3F3008C 0E33851A
	v_mfma_f32_16x16x32_fp8_fp8 v[140:143], a[28:29], v[196:197], v[140:143]// 000000008544: D3F3008C 0E33891C
	buffer_load_dword v35, s[20:23], 0 offen lds               // 00000000854C: E0511000 80050023
	buffer_load_dword v35, s[20:23], 0 offen offset:256 lds    // 000000008554: E0511100 80050023
	s_add_u32 m0, 0, s50                                       // 00000000855C: 807C3280
	v_mfma_f32_16x16x32_fp8_fp8 v[140:143], a[30:31], v[198:199], v[140:143]// 000000008560: D3F3008C 0E338D1E
	buffer_load_dword v15, v6, s[28:31], 0 offen               // 000000008568: E0501000 80070F06
	s_waitcnt vmcnt(33)                                        // 000000008570: BF8C8F71
	v_mfma_f32_16x16x32_fp8_fp8 v[144:147], a[32:33], v[168:169], v[144:147]// 000000008574: D3F30090 0E435120
	buffer_load_dwordx4 a[112:115], v38, s[92:95], 0 offen     // 00000000857C: E05C1000 80977026
	v_mfma_f32_16x16x32_fp8_fp8 v[144:147], a[34:35], v[170:171], v[144:147]// 000000008584: D3F30090 0E435522
	v_mfma_f32_16x16x32_fp8_fp8 v[144:147], a[36:37], v[172:173], v[144:147]// 00000000858C: D3F30090 0E435924
	v_mfma_f32_16x16x32_fp8_fp8 v[144:147], a[38:39], v[174:175], v[144:147]// 000000008594: D3F30090 0E435D26
	v_mfma_f32_16x16x32_fp8_fp8 v[144:147], a[40:41], v[176:177], v[144:147]// 00000000859C: D3F30090 0E436128
	buffer_load_dwordx4 a[116:119], v38, s[92:95], 0 offen offset:1024// 0000000085A4: E05C1400 80977426
	v_mfma_f32_16x16x32_fp8_fp8 v[144:147], a[42:43], v[178:179], v[144:147]// 0000000085AC: D3F30090 0E43652A
	v_mfma_f32_16x16x32_fp8_fp8 v[144:147], a[44:45], v[180:181], v[144:147]// 0000000085B4: D3F30090 0E43692C
	v_mfma_f32_16x16x32_fp8_fp8 v[144:147], a[46:47], v[182:183], v[144:147]// 0000000085BC: D3F30090 0E436D2E
	v_mfma_f32_16x16x32_fp8_fp8 v[148:151], a[32:33], v[184:185], v[148:151]// 0000000085C4: D3F30094 0E537120
	buffer_load_dwordx4 a[120:123], v38, s[92:95], 0 offen offset:2048// 0000000085CC: E05C1800 80977826
	v_mfma_f32_16x16x32_fp8_fp8 v[148:151], a[34:35], v[186:187], v[148:151]// 0000000085D4: D3F30094 0E537522
	v_mfma_f32_16x16x32_fp8_fp8 v[148:151], a[36:37], v[188:189], v[148:151]// 0000000085DC: D3F30094 0E537924
	v_mfma_f32_16x16x32_fp8_fp8 v[148:151], a[38:39], v[190:191], v[148:151]// 0000000085E4: D3F30094 0E537D26
	v_mfma_f32_16x16x32_fp8_fp8 v[148:151], a[40:41], v[192:193], v[148:151]// 0000000085EC: D3F30094 0E538128
	buffer_load_dwordx4 a[124:127], v38, s[92:95], 0 offen offset:3072// 0000000085F4: E05C1C00 80977C26
	v_mfma_f32_16x16x32_fp8_fp8 v[148:151], a[42:43], v[194:195], v[148:151]// 0000000085FC: D3F30094 0E53852A
	v_mfma_f32_16x16x32_fp8_fp8 v[148:151], a[44:45], v[196:197], v[148:151]// 000000008604: D3F30094 0E53892C
	v_mfma_f32_16x16x32_fp8_fp8 v[148:151], a[46:47], v[198:199], v[148:151]// 00000000860C: D3F30094 0E538D2E
	s_waitcnt vmcnt(33)                                        // 000000008614: BF8C8F71
	v_mfma_f32_16x16x32_fp8_fp8 v[152:155], a[48:49], v[168:169], v[152:155]// 000000008618: D3F30098 0E635130
	buffer_load_dwordx4 a[128:131], v39, s[92:95], 0 offen     // 000000008620: E05C1000 80978027
	v_mfma_f32_16x16x32_fp8_fp8 v[152:155], a[50:51], v[170:171], v[152:155]// 000000008628: D3F30098 0E635532
	v_mfma_f32_16x16x32_fp8_fp8 v[152:155], a[52:53], v[172:173], v[152:155]// 000000008630: D3F30098 0E635934
	v_mfma_f32_16x16x32_fp8_fp8 v[152:155], a[54:55], v[174:175], v[152:155]// 000000008638: D3F30098 0E635D36
	v_mfma_f32_16x16x32_fp8_fp8 v[152:155], a[56:57], v[176:177], v[152:155]// 000000008640: D3F30098 0E636138
	buffer_load_dwordx4 a[132:135], v39, s[92:95], 0 offen offset:1024// 000000008648: E05C1400 80978427
	v_mfma_f32_16x16x32_fp8_fp8 v[152:155], a[58:59], v[178:179], v[152:155]// 000000008650: D3F30098 0E63653A
	v_mfma_f32_16x16x32_fp8_fp8 v[152:155], a[60:61], v[180:181], v[152:155]// 000000008658: D3F30098 0E63693C
	v_mfma_f32_16x16x32_fp8_fp8 v[152:155], a[62:63], v[182:183], v[152:155]// 000000008660: D3F30098 0E636D3E
	v_mfma_f32_16x16x32_fp8_fp8 v[156:159], a[48:49], v[184:185], v[156:159]// 000000008668: D3F3009C 0E737130
	buffer_load_dwordx4 a[136:139], v39, s[92:95], 0 offen offset:2048// 000000008670: E05C1800 80978827
	v_mfma_f32_16x16x32_fp8_fp8 v[156:159], a[50:51], v[186:187], v[156:159]// 000000008678: D3F3009C 0E737532
	v_mfma_f32_16x16x32_fp8_fp8 v[156:159], a[52:53], v[188:189], v[156:159]// 000000008680: D3F3009C 0E737934
	v_mfma_f32_16x16x32_fp8_fp8 v[156:159], a[54:55], v[190:191], v[156:159]// 000000008688: D3F3009C 0E737D36
	v_mfma_f32_16x16x32_fp8_fp8 v[156:159], a[56:57], v[192:193], v[156:159]// 000000008690: D3F3009C 0E738138
	buffer_load_dwordx4 a[140:143], v39, s[92:95], 0 offen offset:3072// 000000008698: E05C1C00 80978C27
	v_mfma_f32_16x16x32_fp8_fp8 v[156:159], a[58:59], v[194:195], v[156:159]// 0000000086A0: D3F3009C 0E73853A
	v_mfma_f32_16x16x32_fp8_fp8 v[156:159], a[60:61], v[196:197], v[156:159]// 0000000086A8: D3F3009C 0E73893C
	v_mfma_f32_16x16x32_fp8_fp8 v[156:159], a[62:63], v[198:199], v[156:159]// 0000000086B0: D3F3009C 0E738D3E
	s_waitcnt vmcnt(33)                                        // 0000000086B8: BF8C8F71
	v_mfma_f32_16x16x32_fp8_fp8 v[160:163], a[64:65], v[168:169], v[160:163]// 0000000086BC: D3F300A0 0E835140
	buffer_load_dwordx4 a[144:147], v40, s[92:95], 0 offen     // 0000000086C4: E05C1000 80979028
	v_mfma_f32_16x16x32_fp8_fp8 v[160:163], a[66:67], v[170:171], v[160:163]// 0000000086CC: D3F300A0 0E835542
	v_mfma_f32_16x16x32_fp8_fp8 v[160:163], a[68:69], v[172:173], v[160:163]// 0000000086D4: D3F300A0 0E835944
	v_mfma_f32_16x16x32_fp8_fp8 v[160:163], a[70:71], v[174:175], v[160:163]// 0000000086DC: D3F300A0 0E835D46
	v_mfma_f32_16x16x32_fp8_fp8 v[160:163], a[72:73], v[176:177], v[160:163]// 0000000086E4: D3F300A0 0E836148
	buffer_load_dwordx4 a[148:151], v40, s[92:95], 0 offen offset:1024// 0000000086EC: E05C1400 80979428
	v_mfma_f32_16x16x32_fp8_fp8 v[160:163], a[74:75], v[178:179], v[160:163]// 0000000086F4: D3F300A0 0E83654A
	v_mfma_f32_16x16x32_fp8_fp8 v[160:163], a[76:77], v[180:181], v[160:163]// 0000000086FC: D3F300A0 0E83694C
	v_mfma_f32_16x16x32_fp8_fp8 v[160:163], a[78:79], v[182:183], v[160:163]// 000000008704: D3F300A0 0E836D4E
	v_mfma_f32_16x16x32_fp8_fp8 v[164:167], a[64:65], v[184:185], v[164:167]// 00000000870C: D3F300A4 0E937140
	buffer_load_dwordx4 a[152:155], v40, s[92:95], 0 offen offset:2048// 000000008714: E05C1800 80979828
	v_mfma_f32_16x16x32_fp8_fp8 v[164:167], a[66:67], v[186:187], v[164:167]// 00000000871C: D3F300A4 0E937542
	v_mfma_f32_16x16x32_fp8_fp8 v[164:167], a[68:69], v[188:189], v[164:167]// 000000008724: D3F300A4 0E937944
	v_mfma_f32_16x16x32_fp8_fp8 v[164:167], a[70:71], v[190:191], v[164:167]// 00000000872C: D3F300A4 0E937D46
	v_mfma_f32_16x16x32_fp8_fp8 v[164:167], a[72:73], v[192:193], v[164:167]// 000000008734: D3F300A4 0E938148
	buffer_load_dwordx4 a[156:159], v40, s[92:95], 0 offen offset:3072// 00000000873C: E05C1C00 80979C28
	v_mfma_f32_16x16x32_fp8_fp8 v[164:167], a[74:75], v[194:195], v[164:167]// 000000008744: D3F300A4 0E93854A
	v_mfma_f32_16x16x32_fp8_fp8 v[164:167], a[76:77], v[196:197], v[164:167]// 00000000874C: D3F300A4 0E93894C
	v_mfma_f32_16x16x32_fp8_fp8 v[164:167], a[78:79], v[198:199], v[164:167]// 000000008754: D3F300A4 0E938D4E
	v_mov_b32_e32 v42, v24                                     // 00000000875C: 7E540318
	v_mov_b32_e32 v44, v25                                     // 000000008760: 7E580319
	v_mov_b32_e32 v43, v42                                     // 000000008764: 7E56032A
	v_mov_b32_e32 v45, v44                                     // 000000008768: 7E5A032C
	v_pk_mul_f32 v[128:129], v[42:43], v[128:129]              // 00000000876C: D3B14080 1803012A
	v_pk_mul_f32 v[130:131], v[42:43], v[130:131]              // 000000008774: D3B14082 1803052A
	v_pk_mul_f32 v[132:133], v[44:45], v[132:133]              // 00000000877C: D3B14084 1803092C
	v_pk_mul_f32 v[134:135], v[44:45], v[134:135]              // 000000008784: D3B14086 18030D2C
	v_pk_mul_f32 v[136:137], v[42:43], v[136:137]              // 00000000878C: D3B14088 1803112A
	v_pk_mul_f32 v[138:139], v[42:43], v[138:139]              // 000000008794: D3B1408A 1803152A
	v_pk_mul_f32 v[140:141], v[44:45], v[140:141]              // 00000000879C: D3B1408C 1803192C
	v_pk_mul_f32 v[142:143], v[44:45], v[142:143]              // 0000000087A4: D3B1408E 18031D2C
	v_pk_mul_f32 v[144:145], v[42:43], v[144:145]              // 0000000087AC: D3B14090 1803212A
	v_pk_mul_f32 v[146:147], v[42:43], v[146:147]              // 0000000087B4: D3B14092 1803252A
	v_pk_mul_f32 v[148:149], v[44:45], v[148:149]              // 0000000087BC: D3B14094 1803292C
	v_pk_mul_f32 v[150:151], v[44:45], v[150:151]              // 0000000087C4: D3B14096 18032D2C
	v_pk_mul_f32 v[152:153], v[42:43], v[152:153]              // 0000000087CC: D3B14098 1803312A
	v_pk_mul_f32 v[154:155], v[42:43], v[154:155]              // 0000000087D4: D3B1409A 1803352A
	v_pk_mul_f32 v[156:157], v[44:45], v[156:157]              // 0000000087DC: D3B1409C 1803392C
	v_pk_mul_f32 v[158:159], v[44:45], v[158:159]              // 0000000087E4: D3B1409E 18033D2C
	v_pk_mul_f32 v[160:161], v[42:43], v[160:161]              // 0000000087EC: D3B140A0 1803412A
	v_pk_mul_f32 v[162:163], v[42:43], v[162:163]              // 0000000087F4: D3B140A2 1803452A
	v_pk_mul_f32 v[164:165], v[44:45], v[164:165]              // 0000000087FC: D3B140A4 1803492C
	v_pk_mul_f32 v[166:167], v[44:45], v[166:167]              // 000000008804: D3B140A6 18034D2C
	v_rcp_f32_e32 v42, v24                                     // 00000000880C: 7E544518
	v_rcp_f32_e32 v44, v25                                     // 000000008810: 7E584519
	v_mov_b32_e32 v43, v42                                     // 000000008814: 7E56032A
	v_mov_b32_e32 v45, v44                                     // 000000008818: 7E5A032C
	v_pk_mul_f32 v[64:65], v[42:43], v[64:65]                  // 00000000881C: D3B14040 1802812A
	v_pk_mul_f32 v[66:67], v[42:43], v[66:67]                  // 000000008824: D3B14042 1802852A
	v_pk_mul_f32 v[68:69], v[44:45], v[68:69]                  // 00000000882C: D3B14044 1802892C
	v_pk_mul_f32 v[70:71], v[44:45], v[70:71]                  // 000000008834: D3B14046 18028D2C
	v_pk_mul_f32 v[72:73], v[42:43], v[72:73]                  // 00000000883C: D3B14048 1802912A
	v_pk_mul_f32 v[74:75], v[42:43], v[74:75]                  // 000000008844: D3B1404A 1802952A
	v_pk_mul_f32 v[76:77], v[44:45], v[76:77]                  // 00000000884C: D3B1404C 1802992C
	v_pk_mul_f32 v[78:79], v[44:45], v[78:79]                  // 000000008854: D3B1404E 18029D2C
	v_pk_mul_f32 v[80:81], v[42:43], v[80:81]                  // 00000000885C: D3B14050 1802A12A
	v_pk_mul_f32 v[82:83], v[42:43], v[82:83]                  // 000000008864: D3B14052 1802A52A
	v_pk_mul_f32 v[84:85], v[44:45], v[84:85]                  // 00000000886C: D3B14054 1802A92C
	v_pk_mul_f32 v[86:87], v[44:45], v[86:87]                  // 000000008874: D3B14056 1802AD2C
	v_pk_mul_f32 v[88:89], v[42:43], v[88:89]                  // 00000000887C: D3B14058 1802B12A
	v_pk_mul_f32 v[90:91], v[42:43], v[90:91]                  // 000000008884: D3B1405A 1802B52A
	v_pk_mul_f32 v[92:93], v[44:45], v[92:93]                  // 00000000888C: D3B1405C 1802B92C
	v_pk_mul_f32 v[94:95], v[44:45], v[94:95]                  // 000000008894: D3B1405E 1802BD2C
	v_pk_mul_f32 v[96:97], v[42:43], v[96:97]                  // 00000000889C: D3B14060 1802C12A
	v_pk_mul_f32 v[98:99], v[42:43], v[98:99]                  // 0000000088A4: D3B14062 1802C52A
	v_pk_mul_f32 v[100:101], v[44:45], v[100:101]              // 0000000088AC: D3B14064 1802C92C
	v_pk_mul_f32 v[102:103], v[44:45], v[102:103]              // 0000000088B4: D3B14066 1802CD2C
	s_waitcnt vmcnt(12)                                        // 0000000088BC: BF8C0F7C
	s_barrier                                                  // 0000000088C0: BF8A0000
	v_mfma_f32_16x16x32_fp8_fp8 v[64:67], a[80:81], v[168:169], v[64:67]// 0000000088C4: D3F30040 0D035150
	buffer_load_dwordx4 a[0:3], v36, s[24:27], 0 offen         // 0000000088CC: E05C1000 80860024
	v_mfma_f32_16x16x32_fp8_fp8 v[64:67], a[82:83], v[170:171], v[64:67]// 0000000088D4: D3F30040 0D035552
	ds_read_b64 v[200:201], v2 offset:18688                    // 0000000088DC: D8EC4900 C8000002
	ds_read_b64 v[204:205], v2 offset:27008                    // 0000000088E4: D8EC6980 CC000002
	v_mfma_f32_16x16x32_fp8_fp8 v[64:67], a[84:85], v[172:173], v[64:67]// 0000000088EC: D3F30040 0D035954
	v_mfma_f32_16x16x32_fp8_fp8 v[64:67], a[86:87], v[174:175], v[64:67]// 0000000088F4: D3F30040 0D035D56
	ds_read_b64 v[208:209], v2 offset:18816                    // 0000000088FC: D8EC4980 D0000002
	ds_read_b64 v[212:213], v2 offset:27136                    // 000000008904: D8EC6A00 D4000002
	v_mfma_f32_16x16x32_fp8_fp8 v[64:67], a[88:89], v[176:177], v[64:67]// 00000000890C: D3F30040 0D036158
	buffer_load_dwordx4 a[4:7], v36, s[24:27], 0 offen offset:1024// 000000008914: E05C1400 80860424
	v_mfma_f32_16x16x32_fp8_fp8 v[64:67], a[90:91], v[178:179], v[64:67]// 00000000891C: D3F30040 0D03655A
	ds_read_b64 v[216:217], v2 offset:18944                    // 000000008924: D8EC4A00 D8000002
	ds_read_b64 v[220:221], v2 offset:27264                    // 00000000892C: D8EC6A80 DC000002
	v_mfma_f32_16x16x32_fp8_fp8 v[64:67], a[92:93], v[180:181], v[64:67]// 000000008934: D3F30040 0D03695C
	v_mfma_f32_16x16x32_fp8_fp8 v[64:67], a[94:95], v[182:183], v[64:67]// 00000000893C: D3F30040 0D036D5E
	ds_read_b64 v[224:225], v2 offset:19072                    // 000000008944: D8EC4A80 E0000002
	ds_read_b64 v[228:229], v2 offset:27392                    // 00000000894C: D8EC6B00 E4000002
	s_waitcnt lgkmcnt(4)                                       // 000000008954: BF8CC47F
	v_and_b32_e32 v203, 0xffff0000, v201                       // 000000008958: 279792FF FFFF0000
	v_lshlrev_b32_e32 v202, 16, v201                           // 000000008960: 25959290
	v_and_b32_e32 v201, 0xffff0000, v200                       // 000000008964: 279390FF FFFF0000
	v_lshlrev_b32_e32 v200, 16, v200                           // 00000000896C: 25919090
	v_and_b32_e32 v207, 0xffff0000, v205                       // 000000008970: 279F9AFF FFFF0000
	v_lshlrev_b32_e32 v206, 16, v205                           // 000000008978: 259D9A90
	v_and_b32_e32 v205, 0xffff0000, v204                       // 00000000897C: 279B98FF FFFF0000
	v_lshlrev_b32_e32 v204, 16, v204                           // 000000008984: 25999890
	v_and_b32_e32 v211, 0xffff0000, v209                       // 000000008988: 27A7A2FF FFFF0000
	v_lshlrev_b32_e32 v210, 16, v209                           // 000000008990: 25A5A290
	v_and_b32_e32 v209, 0xffff0000, v208                       // 000000008994: 27A3A0FF FFFF0000
	v_lshlrev_b32_e32 v208, 16, v208                           // 00000000899C: 25A1A090
	v_and_b32_e32 v215, 0xffff0000, v213                       // 0000000089A0: 27AFAAFF FFFF0000
	v_lshlrev_b32_e32 v214, 16, v213                           // 0000000089A8: 25ADAA90
	v_and_b32_e32 v213, 0xffff0000, v212                       // 0000000089AC: 27ABA8FF FFFF0000
	v_lshlrev_b32_e32 v212, 16, v212                           // 0000000089B4: 25A9A890
	v_mul_f32_dpp v200, v15, v200 row_newbcast:0 row_mask:0xf bank_mask:0xf// 0000000089B8: 0B9190FA FF01500F
	v_mul_f32_dpp v201, v15, v201 row_newbcast:1 row_mask:0xf bank_mask:0xf// 0000000089C0: 0B9392FA FF01510F
	v_mul_f32_dpp v202, v15, v202 row_newbcast:2 row_mask:0xf bank_mask:0xf// 0000000089C8: 0B9594FA FF01520F
	v_mul_f32_dpp v203, v15, v203 row_newbcast:3 row_mask:0xf bank_mask:0xf// 0000000089D0: 0B9796FA FF01530F
	v_mul_f32_dpp v204, v15, v204 row_newbcast:0 row_mask:0xf bank_mask:0xf// 0000000089D8: 0B9998FA FF01500F
	v_mul_f32_dpp v205, v15, v205 row_newbcast:1 row_mask:0xf bank_mask:0xf// 0000000089E0: 0B9B9AFA FF01510F
	v_mul_f32_dpp v206, v15, v206 row_newbcast:2 row_mask:0xf bank_mask:0xf// 0000000089E8: 0B9D9CFA FF01520F
	v_mul_f32_dpp v207, v15, v207 row_newbcast:3 row_mask:0xf bank_mask:0xf// 0000000089F0: 0B9F9EFA FF01530F
	v_mul_f32_dpp v208, v15, v208 row_newbcast:4 row_mask:0xf bank_mask:0xf// 0000000089F8: 0BA1A0FA FF01540F
	v_mul_f32_dpp v209, v15, v209 row_newbcast:5 row_mask:0xf bank_mask:0xf// 000000008A00: 0BA3A2FA FF01550F
	v_mul_f32_dpp v210, v15, v210 row_newbcast:6 row_mask:0xf bank_mask:0xf// 000000008A08: 0BA5A4FA FF01560F
	v_mul_f32_dpp v211, v15, v211 row_newbcast:7 row_mask:0xf bank_mask:0xf// 000000008A10: 0BA7A6FA FF01570F
	v_mul_f32_dpp v212, v15, v212 row_newbcast:4 row_mask:0xf bank_mask:0xf// 000000008A18: 0BA9A8FA FF01540F
	v_mul_f32_dpp v213, v15, v213 row_newbcast:5 row_mask:0xf bank_mask:0xf// 000000008A20: 0BABAAFA FF01550F
	v_mul_f32_dpp v214, v15, v214 row_newbcast:6 row_mask:0xf bank_mask:0xf// 000000008A28: 0BADACFA FF01560F
	v_mul_f32_dpp v215, v15, v215 row_newbcast:7 row_mask:0xf bank_mask:0xf// 000000008A30: 0BAFAEFA FF01570F
	v_mfma_f32_16x16x32_fp8_fp8 v[68:71], a[80:81], v[184:185], v[68:71]// 000000008A38: D3F30044 0D137150
	buffer_load_dwordx4 a[8:11], v36, s[24:27], 0 offen offset:2048// 000000008A40: E05C1800 80860824
	v_mfma_f32_16x16x32_fp8_fp8 v[68:71], a[82:83], v[186:187], v[68:71]// 000000008A48: D3F30044 0D137552
	v_mfma_f32_16x16x32_fp8_fp8 v[68:71], a[84:85], v[188:189], v[68:71]// 000000008A50: D3F30044 0D137954
	v_mfma_f32_16x16x32_fp8_fp8 v[68:71], a[86:87], v[190:191], v[68:71]// 000000008A58: D3F30044 0D137D56
	v_mfma_f32_16x16x32_fp8_fp8 v[68:71], a[88:89], v[192:193], v[68:71]// 000000008A60: D3F30044 0D138158
	buffer_load_dwordx4 a[12:15], v36, s[24:27], 0 offen offset:3072// 000000008A68: E05C1C00 80860C24
	v_mfma_f32_16x16x32_fp8_fp8 v[68:71], a[90:91], v[194:195], v[68:71]// 000000008A70: D3F30044 0D13855A
	v_mfma_f32_16x16x32_fp8_fp8 v[68:71], a[92:93], v[196:197], v[68:71]// 000000008A78: D3F30044 0D13895C
	v_mfma_f32_16x16x32_fp8_fp8 v[68:71], a[94:95], v[198:199], v[68:71]// 000000008A80: D3F30044 0D138D5E
	s_waitcnt lgkmcnt(0)                                       // 000000008A88: BF8CC07F
	v_and_b32_e32 v219, 0xffff0000, v217                       // 000000008A8C: 27B7B2FF FFFF0000
	v_lshlrev_b32_e32 v218, 16, v217                           // 000000008A94: 25B5B290
	v_and_b32_e32 v217, 0xffff0000, v216                       // 000000008A98: 27B3B0FF FFFF0000
	v_lshlrev_b32_e32 v216, 16, v216                           // 000000008AA0: 25B1B090
	v_and_b32_e32 v223, 0xffff0000, v221                       // 000000008AA4: 27BFBAFF FFFF0000
	v_lshlrev_b32_e32 v222, 16, v221                           // 000000008AAC: 25BDBA90
	v_and_b32_e32 v221, 0xffff0000, v220                       // 000000008AB0: 27BBB8FF FFFF0000
	v_lshlrev_b32_e32 v220, 16, v220                           // 000000008AB8: 25B9B890
	v_and_b32_e32 v227, 0xffff0000, v225                       // 000000008ABC: 27C7C2FF FFFF0000
	v_lshlrev_b32_e32 v226, 16, v225                           // 000000008AC4: 25C5C290
	v_and_b32_e32 v225, 0xffff0000, v224                       // 000000008AC8: 27C3C0FF FFFF0000
	v_lshlrev_b32_e32 v224, 16, v224                           // 000000008AD0: 25C1C090
	v_and_b32_e32 v231, 0xffff0000, v229                       // 000000008AD4: 27CFCAFF FFFF0000
	v_lshlrev_b32_e32 v230, 16, v229                           // 000000008ADC: 25CDCA90
	v_and_b32_e32 v229, 0xffff0000, v228                       // 000000008AE0: 27CBC8FF FFFF0000
	v_lshlrev_b32_e32 v228, 16, v228                           // 000000008AE8: 25C9C890
	v_mul_f32_dpp v216, v15, v216 row_newbcast:8 row_mask:0xf bank_mask:0xf// 000000008AEC: 0BB1B0FA FF01580F
	v_mul_f32_dpp v217, v15, v217 row_newbcast:9 row_mask:0xf bank_mask:0xf// 000000008AF4: 0BB3B2FA FF01590F
	v_mul_f32_dpp v218, v15, v218 row_newbcast:10 row_mask:0xf bank_mask:0xf// 000000008AFC: 0BB5B4FA FF015A0F
	v_mul_f32_dpp v219, v15, v219 row_newbcast:11 row_mask:0xf bank_mask:0xf// 000000008B04: 0BB7B6FA FF015B0F
	v_mul_f32_dpp v220, v15, v220 row_newbcast:8 row_mask:0xf bank_mask:0xf// 000000008B0C: 0BB9B8FA FF01580F
	v_mul_f32_dpp v221, v15, v221 row_newbcast:9 row_mask:0xf bank_mask:0xf// 000000008B14: 0BBBBAFA FF01590F
	v_mul_f32_dpp v222, v15, v222 row_newbcast:10 row_mask:0xf bank_mask:0xf// 000000008B1C: 0BBDBCFA FF015A0F
	v_mul_f32_dpp v223, v15, v223 row_newbcast:11 row_mask:0xf bank_mask:0xf// 000000008B24: 0BBFBEFA FF015B0F
	v_mul_f32_dpp v224, v15, v224 row_newbcast:12 row_mask:0xf bank_mask:0xf// 000000008B2C: 0BC1C0FA FF015C0F
	v_mul_f32_dpp v225, v15, v225 row_newbcast:13 row_mask:0xf bank_mask:0xf// 000000008B34: 0BC3C2FA FF015D0F
	v_mul_f32_dpp v226, v15, v226 row_newbcast:14 row_mask:0xf bank_mask:0xf// 000000008B3C: 0BC5C4FA FF015E0F
	v_mul_f32_dpp v227, v15, v227 row_newbcast:15 row_mask:0xf bank_mask:0xf// 000000008B44: 0BC7C6FA FF015F0F
	v_mul_f32_dpp v228, v15, v228 row_newbcast:12 row_mask:0xf bank_mask:0xf// 000000008B4C: 0BC9C8FA FF015C0F
	v_mul_f32_dpp v229, v15, v229 row_newbcast:13 row_mask:0xf bank_mask:0xf// 000000008B54: 0BCBCAFA FF015D0F
	v_mul_f32_dpp v230, v15, v230 row_newbcast:14 row_mask:0xf bank_mask:0xf// 000000008B5C: 0BCDCCFA FF015E0F
	v_mul_f32_dpp v231, v15, v231 row_newbcast:15 row_mask:0xf bank_mask:0xf// 000000008B64: 0BCFCEFA FF015F0F
	v_mfma_f32_16x16x32_fp8_fp8 v[72:75], a[96:97], v[168:169], v[72:75]// 000000008B6C: D3F30048 0D235160
	buffer_load_dwordx4 a[16:19], v37, s[24:27], 0 offen       // 000000008B74: E05C1000 80861025
	v_mfma_f32_16x16x32_fp8_fp8 v[72:75], a[98:99], v[170:171], v[72:75]// 000000008B7C: D3F30048 0D235562
	v_mov_b32_e32 v46, 0x358637bd                              // 000000008B84: 7E5C02FF 358637BD
	v_mov_b32_e32 v47, 0x358637bd                              // 000000008B8C: 7E5E02FF 358637BD
	v_max3_f32 v46, |v200|, |v201|, v46                        // 000000008B94: D1D3032E 04BB93C8
	v_max3_f32 v46, |v202|, |v203|, v46                        // 000000008B9C: D1D3032E 04BB97CA
	v_max3_f32 v47, |v204|, |v205|, v47                        // 000000008BA4: D1D3032F 04BF9BCC
	v_max3_f32 v47, |v206|, |v207|, v47                        // 000000008BAC: D1D3032F 04BF9FCE
	v_max3_f32 v46, |v208|, |v209|, v46                        // 000000008BB4: D1D3032E 04BBA3D0
	v_max3_f32 v46, |v210|, |v211|, v46                        // 000000008BBC: D1D3032E 04BBA7D2
	v_max3_f32 v47, |v212|, |v213|, v47                        // 000000008BC4: D1D3032F 04BFABD4
	v_max3_f32 v47, |v214|, |v215|, v47                        // 000000008BCC: D1D3032F 04BFAFD6
	v_max3_f32 v46, |v216|, |v217|, v46                        // 000000008BD4: D1D3032E 04BBB3D8
	v_max3_f32 v46, |v218|, |v219|, v46                        // 000000008BDC: D1D3032E 04BBB7DA
	v_max3_f32 v47, |v220|, |v221|, v47                        // 000000008BE4: D1D3032F 04BFBBDC
	v_max3_f32 v47, |v222|, |v223|, v47                        // 000000008BEC: D1D3032F 04BFBFDE
	v_max3_f32 v46, |v224|, |v225|, v46                        // 000000008BF4: D1D3032E 04BBC3E0
	v_max3_f32 v46, |v226|, |v227|, v46                        // 000000008BFC: D1D3032E 04BBC7E2
	v_max3_f32 v47, |v228|, |v229|, v47                        // 000000008C04: D1D3032F 04BFCBE4
	v_max3_f32 v47, |v230|, |v231|, v47                        // 000000008C0C: D1D3032F 04BFCFE6
	v_mfma_f32_16x16x32_fp8_fp8 v[72:75], a[100:101], v[172:173], v[72:75]// 000000008C14: D3F30048 0D235964
	v_mfma_f32_16x16x32_fp8_fp8 v[72:75], a[102:103], v[174:175], v[72:75]// 000000008C1C: D3F30048 0D235D66
	ds_write_b64 v3, v[46:47]                                  // 000000008C24: D89A0000 00002E03
	v_mfma_f32_16x16x32_fp8_fp8 v[72:75], a[104:105], v[176:177], v[72:75]// 000000008C2C: D3F30048 0D236168
	buffer_load_dwordx4 a[20:23], v37, s[24:27], 0 offen offset:1024// 000000008C34: E05C1400 80861425
	v_mfma_f32_16x16x32_fp8_fp8 v[72:75], a[106:107], v[178:179], v[72:75]// 000000008C3C: D3F30048 0D23656A
	s_waitcnt lgkmcnt(0)                                       // 000000008C44: BF8CC07F
	s_barrier                                                  // 000000008C48: BF8A0000
	v_mfma_f32_16x16x32_fp8_fp8 v[72:75], a[108:109], v[180:181], v[72:75]// 000000008C4C: D3F30048 0D23696C
	v_mfma_f32_16x16x32_fp8_fp8 v[72:75], a[110:111], v[182:183], v[72:75]// 000000008C54: D3F30048 0D236D6E
	ds_read_b64 v[46:47], v4                                   // 000000008C5C: D8EC0000 2E000004
	ds_read_b64 v[48:49], v4 offset:128                        // 000000008C64: D8EC0080 30000004
	v_mfma_f32_16x16x32_fp8_fp8 v[76:79], a[96:97], v[184:185], v[76:79]// 000000008C6C: D3F3004C 0D337160
	buffer_load_dwordx4 a[24:27], v37, s[24:27], 0 offen offset:2048// 000000008C74: E05C1800 80861825
	v_mfma_f32_16x16x32_fp8_fp8 v[76:79], a[98:99], v[186:187], v[76:79]// 000000008C7C: D3F3004C 0D337562
	ds_read_b64 v[50:51], v4 offset:256                        // 000000008C84: D8EC0100 32000004
	ds_read_b64 v[52:53], v4 offset:384                        // 000000008C8C: D8EC0180 34000004
	v_mfma_f32_16x16x32_fp8_fp8 v[76:79], a[100:101], v[188:189], v[76:79]// 000000008C94: D3F3004C 0D337964
	v_mfma_f32_16x16x32_fp8_fp8 v[76:79], a[102:103], v[190:191], v[76:79]// 000000008C9C: D3F3004C 0D337D66
	ds_read_b64 v[54:55], v4 offset:512                        // 000000008CA4: D8EC0200 36000004
	ds_read_b64 v[56:57], v4 offset:640                        // 000000008CAC: D8EC0280 38000004
	v_mfma_f32_16x16x32_fp8_fp8 v[76:79], a[104:105], v[192:193], v[76:79]// 000000008CB4: D3F3004C 0D338168
	buffer_load_dwordx4 a[28:31], v37, s[24:27], 0 offen offset:3072// 000000008CBC: E05C1C00 80861C25
	v_mfma_f32_16x16x32_fp8_fp8 v[76:79], a[106:107], v[194:195], v[76:79]// 000000008CC4: D3F3004C 0D33856A
	ds_read_b64 v[58:59], v4 offset:768                        // 000000008CCC: D8EC0300 3A000004
	ds_read_b64 v[60:61], v4 offset:896                        // 000000008CD4: D8EC0380 3C000004
	v_mfma_f32_16x16x32_fp8_fp8 v[76:79], a[108:109], v[196:197], v[76:79]// 000000008CDC: D3F3004C 0D33896C
	v_mfma_f32_16x16x32_fp8_fp8 v[76:79], a[110:111], v[198:199], v[76:79]// 000000008CE4: D3F3004C 0D338D6E
	s_waitcnt vmcnt(16)                                        // 000000008CEC: BF8C4F70
	v_mfma_f32_16x16x32_fp8_fp8 v[80:83], a[112:113], v[168:169], v[80:83]// 000000008CF0: D3F30050 0D435170
	buffer_load_dwordx4 a[32:35], v38, s[24:27], 0 offen       // 000000008CF8: E05C1000 80862026
	v_mfma_f32_16x16x32_fp8_fp8 v[80:83], a[114:115], v[170:171], v[80:83]// 000000008D00: D3F30050 0D435572
	s_waitcnt lgkmcnt(0)                                       // 000000008D08: BF8CC07F
	v_mov_b32_e32 v22, 0x358637bd                              // 000000008D0C: 7E2C02FF 358637BD
	v_mov_b32_e32 v23, 0x358637bd                              // 000000008D14: 7E2E02FF 358637BD
	v_max3_f32 v22, |v46|, |v48|, v22                          // 000000008D1C: D1D30316 045A612E
	v_max3_f32 v23, |v47|, |v49|, v23                          // 000000008D24: D1D30317 045E632F
	v_max3_f32 v22, |v50|, |v52|, v22                          // 000000008D2C: D1D30316 045A6932
	v_max3_f32 v23, |v51|, |v53|, v23                          // 000000008D34: D1D30317 045E6B33
	v_max3_f32 v22, |v54|, |v56|, v22                          // 000000008D3C: D1D30316 045A7136
	v_max3_f32 v23, |v55|, |v57|, v23                          // 000000008D44: D1D30317 045E7337
	v_max3_f32 v22, |v58|, |v60|, v22                          // 000000008D4C: D1D30316 045A793A
	v_max3_f32 v23, |v59|, |v61|, v23                          // 000000008D54: D1D30317 045E7B3B
	v_mfma_f32_16x16x32_fp8_fp8 v[80:83], a[116:117], v[172:173], v[80:83]// 000000008D5C: D3F30050 0D435974
	v_mfma_f32_16x16x32_fp8_fp8 v[80:83], a[118:119], v[174:175], v[80:83]// 000000008D64: D3F30050 0D435D76
	ds_read_b64 v[46:47], v4 offset:1024                       // 000000008D6C: D8EC0400 2E000004
	ds_read_b64 v[48:49], v4 offset:1152                       // 000000008D74: D8EC0480 30000004
	v_mfma_f32_16x16x32_fp8_fp8 v[80:83], a[120:121], v[176:177], v[80:83]// 000000008D7C: D3F30050 0D436178
	buffer_load_dwordx4 a[36:39], v38, s[24:27], 0 offen offset:1024// 000000008D84: E05C1400 80862426
	v_mfma_f32_16x16x32_fp8_fp8 v[80:83], a[122:123], v[178:179], v[80:83]// 000000008D8C: D3F30050 0D43657A
	ds_read_b64 v[50:51], v4 offset:1280                       // 000000008D94: D8EC0500 32000004
	ds_read_b64 v[52:53], v4 offset:1408                       // 000000008D9C: D8EC0580 34000004
	v_mfma_f32_16x16x32_fp8_fp8 v[80:83], a[124:125], v[180:181], v[80:83]// 000000008DA4: D3F30050 0D43697C
	v_mfma_f32_16x16x32_fp8_fp8 v[80:83], a[126:127], v[182:183], v[80:83]// 000000008DAC: D3F30050 0D436D7E
	ds_read_b64 v[54:55], v4 offset:1536                       // 000000008DB4: D8EC0600 36000004
	ds_read_b64 v[56:57], v4 offset:1664                       // 000000008DBC: D8EC0680 38000004
	v_mfma_f32_16x16x32_fp8_fp8 v[84:87], a[112:113], v[184:185], v[84:87]// 000000008DC4: D3F30054 0D537170
	buffer_load_dwordx4 a[40:43], v38, s[24:27], 0 offen offset:2048// 000000008DCC: E05C1800 80862826
	v_mfma_f32_16x16x32_fp8_fp8 v[84:87], a[114:115], v[186:187], v[84:87]// 000000008DD4: D3F30054 0D537572
	ds_read_b64 v[58:59], v4 offset:1792                       // 000000008DDC: D8EC0700 3A000004
	ds_read_b64 v[60:61], v4 offset:1920                       // 000000008DE4: D8EC0780 3C000004
	v_mfma_f32_16x16x32_fp8_fp8 v[84:87], a[116:117], v[188:189], v[84:87]// 000000008DEC: D3F30054 0D537974
	v_mfma_f32_16x16x32_fp8_fp8 v[84:87], a[118:119], v[190:191], v[84:87]// 000000008DF4: D3F30054 0D537D76
	v_mfma_f32_16x16x32_fp8_fp8 v[84:87], a[120:121], v[192:193], v[84:87]// 000000008DFC: D3F30054 0D538178
	buffer_load_dwordx4 a[44:47], v38, s[24:27], 0 offen offset:3072// 000000008E04: E05C1C00 80862C26
	v_mfma_f32_16x16x32_fp8_fp8 v[84:87], a[122:123], v[194:195], v[84:87]// 000000008E0C: D3F30054 0D53857A
	s_waitcnt lgkmcnt(0)                                       // 000000008E14: BF8CC07F
	v_max3_f32 v22, |v46|, |v48|, v22                          // 000000008E18: D1D30316 045A612E
	v_max3_f32 v23, |v47|, |v49|, v23                          // 000000008E20: D1D30317 045E632F
	v_max3_f32 v22, |v50|, |v52|, v22                          // 000000008E28: D1D30316 045A6932
	v_max3_f32 v23, |v51|, |v53|, v23                          // 000000008E30: D1D30317 045E6B33
	v_max3_f32 v22, |v54|, |v56|, v22                          // 000000008E38: D1D30316 045A7136
	v_max3_f32 v23, |v55|, |v57|, v23                          // 000000008E40: D1D30317 045E7337
	v_max3_f32 v22, |v58|, |v60|, v22                          // 000000008E48: D1D30316 045A793A
	v_max3_f32 v23, |v59|, |v61|, v23                          // 000000008E50: D1D30317 045E7B3B
	v_mov_b32_e32 v42, 0x43700000                              // 000000008E58: 7E5402FF 43700000
	v_rcp_f32_e32 v22, v22                                     // 000000008E60: 7E2C4516
	v_rcp_f32_e32 v23, v23                                     // 000000008E64: 7E2E4517
	s_nop 1                                                    // 000000008E68: BF800001
	v_mul_f32_e32 v22, v42, v22                                // 000000008E6C: 0A2C2D2A
	v_mul_f32_e32 v23, v42, v23                                // 000000008E70: 0A2E2F2A
	v_rcp_f32_e32 v26, v22                                     // 000000008E74: 7E344516
	v_rcp_f32_e32 v27, v23                                     // 000000008E78: 7E364517
	v_mov_b32_e32 v42, v22                                     // 000000008E7C: 7E540316
	v_mov_b32_e32 v43, v22                                     // 000000008E80: 7E560316
	v_mov_b32_e32 v44, v23                                     // 000000008E84: 7E580317
	v_mov_b32_e32 v45, v23                                     // 000000008E88: 7E5A0317
	v_pk_mul_f32 v[200:201], v[42:43], v[200:201]              // 000000008E8C: D3B140C8 1803912A
	v_pk_mul_f32 v[202:203], v[42:43], v[202:203]              // 000000008E94: D3B140CA 1803952A
	v_cvt_pk_fp8_f32 v200, v200, v201                          // 000000008E9C: D2A200C8 000393C8
	v_cvt_pk_fp8_f32 v200, v202, v203 op_sel:[0,0,1]           // 000000008EA4: D2A240C8 000397CA
	v_pk_mul_f32 v[204:205], v[44:45], v[204:205]              // 000000008EAC: D3B140CC 1803992C
	v_pk_mul_f32 v[206:207], v[44:45], v[206:207]              // 000000008EB4: D3B140CE 18039D2C
	v_cvt_pk_fp8_f32 v201, v204, v205                          // 000000008EBC: D2A200C9 00039BCC
	v_cvt_pk_fp8_f32 v201, v206, v207 op_sel:[0,0,1]           // 000000008EC4: D2A240C9 00039FCE
	v_pk_mul_f32 v[208:209], v[42:43], v[208:209]              // 000000008ECC: D3B140D0 1803A12A
	v_pk_mul_f32 v[210:211], v[42:43], v[210:211]              // 000000008ED4: D3B140D2 1803A52A
	v_cvt_pk_fp8_f32 v202, v208, v209                          // 000000008EDC: D2A200CA 0003A3D0
	v_cvt_pk_fp8_f32 v202, v210, v211 op_sel:[0,0,1]           // 000000008EE4: D2A240CA 0003A7D2
	v_pk_mul_f32 v[212:213], v[44:45], v[212:213]              // 000000008EEC: D3B140D4 1803A92C
	v_pk_mul_f32 v[214:215], v[44:45], v[214:215]              // 000000008EF4: D3B140D6 1803AD2C
	v_cvt_pk_fp8_f32 v203, v212, v213                          // 000000008EFC: D2A200CB 0003ABD4
	v_cvt_pk_fp8_f32 v203, v214, v215 op_sel:[0,0,1]           // 000000008F04: D2A240CB 0003AFD6
	v_pk_mul_f32 v[216:217], v[42:43], v[216:217]              // 000000008F0C: D3B140D8 1803B12A
	v_pk_mul_f32 v[218:219], v[42:43], v[218:219]              // 000000008F14: D3B140DA 1803B52A
	v_cvt_pk_fp8_f32 v204, v216, v217                          // 000000008F1C: D2A200CC 0003B3D8
	v_cvt_pk_fp8_f32 v204, v218, v219 op_sel:[0,0,1]           // 000000008F24: D2A240CC 0003B7DA
	v_pk_mul_f32 v[220:221], v[44:45], v[220:221]              // 000000008F2C: D3B140DC 1803B92C
	v_pk_mul_f32 v[222:223], v[44:45], v[222:223]              // 000000008F34: D3B140DE 1803BD2C
	v_cvt_pk_fp8_f32 v205, v220, v221                          // 000000008F3C: D2A200CD 0003BBDC
	v_cvt_pk_fp8_f32 v205, v222, v223 op_sel:[0,0,1]           // 000000008F44: D2A240CD 0003BFDE
	v_pk_mul_f32 v[224:225], v[42:43], v[224:225]              // 000000008F4C: D3B140E0 1803C12A
	v_pk_mul_f32 v[226:227], v[42:43], v[226:227]              // 000000008F54: D3B140E2 1803C52A
	v_cvt_pk_fp8_f32 v206, v224, v225                          // 000000008F5C: D2A200CE 0003C3E0
	v_cvt_pk_fp8_f32 v206, v226, v227 op_sel:[0,0,1]           // 000000008F64: D2A240CE 0003C7E2
	v_pk_mul_f32 v[228:229], v[44:45], v[228:229]              // 000000008F6C: D3B140E4 1803C92C
	v_pk_mul_f32 v[230:231], v[44:45], v[230:231]              // 000000008F74: D3B140E6 1803CD2C
	v_cvt_pk_fp8_f32 v207, v228, v229                          // 000000008F7C: D2A200CF 0003CBE4
	v_cvt_pk_fp8_f32 v207, v230, v231 op_sel:[0,0,1]           // 000000008F84: D2A240CF 0003CFE6
	v_mfma_f32_16x16x32_fp8_fp8 v[84:87], a[124:125], v[196:197], v[84:87]// 000000008F8C: D3F30054 0D53897C
	v_mfma_f32_16x16x32_fp8_fp8 v[84:87], a[126:127], v[198:199], v[84:87]// 000000008F94: D3F30054 0D538D7E
	ds_write_b32 v12, v200 offset:2048                         // 000000008F9C: D81A0800 0000C80C
	ds_write_b32 v12, v201 offset:6144                         // 000000008FA4: D81A1800 0000C90C
	s_waitcnt vmcnt(16)                                        // 000000008FAC: BF8C4F70
	v_mfma_f32_16x16x32_fp8_fp8 v[88:91], a[128:129], v[168:169], v[88:91]// 000000008FB0: D3F30058 0D635180
	buffer_load_dwordx4 a[48:51], v39, s[24:27], 0 offen       // 000000008FB8: E05C1000 80863027
	v_mfma_f32_16x16x32_fp8_fp8 v[88:91], a[130:131], v[170:171], v[88:91]// 000000008FC0: D3F30058 0D635582
	ds_write_b32 v12, v202 offset:3072                         // 000000008FC8: D81A0C00 0000CA0C
	ds_write_b32 v12, v203 offset:7168                         // 000000008FD0: D81A1C00 0000CB0C
	v_mfma_f32_16x16x32_fp8_fp8 v[88:91], a[132:133], v[172:173], v[88:91]// 000000008FD8: D3F30058 0D635984
	v_mfma_f32_16x16x32_fp8_fp8 v[88:91], a[134:135], v[174:175], v[88:91]// 000000008FE0: D3F30058 0D635D86
	ds_write_b32 v12, v204 offset:4096                         // 000000008FE8: D81A1000 0000CC0C
	ds_write_b32 v12, v205 offset:8192                         // 000000008FF0: D81A2000 0000CD0C
	v_mfma_f32_16x16x32_fp8_fp8 v[88:91], a[136:137], v[176:177], v[88:91]// 000000008FF8: D3F30058 0D636188
	buffer_load_dwordx4 a[52:55], v39, s[24:27], 0 offen offset:1024// 000000009000: E05C1400 80863427
	v_mfma_f32_16x16x32_fp8_fp8 v[88:91], a[138:139], v[178:179], v[88:91]// 000000009008: D3F30058 0D63658A
	ds_write_b32 v12, v206 offset:5120                         // 000000009010: D81A1400 0000CE0C
	ds_write_b32 v12, v207 offset:9216                         // 000000009018: D81A2400 0000CF0C
	v_mfma_f32_16x16x32_fp8_fp8 v[88:91], a[140:141], v[180:181], v[88:91]// 000000009020: D3F30058 0D63698C
	v_mfma_f32_16x16x32_fp8_fp8 v[88:91], a[142:143], v[182:183], v[88:91]// 000000009028: D3F30058 0D636D8E
	v_mfma_f32_16x16x32_fp8_fp8 v[92:95], a[128:129], v[184:185], v[92:95]// 000000009030: D3F3005C 0D737180
	buffer_load_dwordx4 a[56:59], v39, s[24:27], 0 offen offset:2048// 000000009038: E05C1800 80863827
	v_mfma_f32_16x16x32_fp8_fp8 v[92:95], a[130:131], v[186:187], v[92:95]// 000000009040: D3F3005C 0D737582
	v_mfma_f32_16x16x32_fp8_fp8 v[92:95], a[132:133], v[188:189], v[92:95]// 000000009048: D3F3005C 0D737984
	v_mfma_f32_16x16x32_fp8_fp8 v[92:95], a[134:135], v[190:191], v[92:95]// 000000009050: D3F3005C 0D737D86
	s_waitcnt lgkmcnt(0)                                       // 000000009058: BF8CC07F
	s_barrier                                                  // 00000000905C: BF8A0000
	v_mfma_f32_16x16x32_fp8_fp8 v[92:95], a[136:137], v[192:193], v[92:95]// 000000009060: D3F3005C 0D738188
	buffer_load_dwordx4 a[60:63], v39, s[24:27], 0 offen offset:3072// 000000009068: E05C1C00 80863C27
	v_mfma_f32_16x16x32_fp8_fp8 v[92:95], a[138:139], v[194:195], v[92:95]// 000000009070: D3F3005C 0D73858A
	ds_read_b64 v[200:201], v13 offset:2048                    // 000000009078: D8EC0800 C800000D
	ds_read_b64 v[202:203], v13 offset:2176                    // 000000009080: D8EC0880 CA00000D
	v_mfma_f32_16x16x32_fp8_fp8 v[92:95], a[140:141], v[196:197], v[92:95]// 000000009088: D3F3005C 0D73898C
	v_mfma_f32_16x16x32_fp8_fp8 v[92:95], a[142:143], v[198:199], v[92:95]// 000000009090: D3F3005C 0D738D8E
	ds_read_b64 v[204:205], v13 offset:3072                    // 000000009098: D8EC0C00 CC00000D
	ds_read_b64 v[206:207], v13 offset:3200                    // 0000000090A0: D8EC0C80 CE00000D
	s_waitcnt vmcnt(16)                                        // 0000000090A8: BF8C4F70
	v_mfma_f32_16x16x32_fp8_fp8 v[96:99], a[144:145], v[168:169], v[96:99]// 0000000090AC: D3F30060 0D835190
	buffer_load_dwordx4 a[64:67], v40, s[24:27], 0 offen       // 0000000090B4: E05C1000 80864028
	v_mfma_f32_16x16x32_fp8_fp8 v[96:99], a[146:147], v[170:171], v[96:99]// 0000000090BC: D3F30060 0D835592
	ds_read_b64 v[208:209], v13 offset:4096                    // 0000000090C4: D8EC1000 D000000D
	ds_read_b64 v[210:211], v13 offset:4224                    // 0000000090CC: D8EC1080 D200000D
	v_mfma_f32_16x16x32_fp8_fp8 v[96:99], a[148:149], v[172:173], v[96:99]// 0000000090D4: D3F30060 0D835994
	v_mfma_f32_16x16x32_fp8_fp8 v[96:99], a[150:151], v[174:175], v[96:99]// 0000000090DC: D3F30060 0D835D96
	ds_read_b64 v[212:213], v13 offset:5120                    // 0000000090E4: D8EC1400 D400000D
	ds_read_b64 v[214:215], v13 offset:5248                    // 0000000090EC: D8EC1480 D600000D
	v_mfma_f32_16x16x32_fp8_fp8 v[96:99], a[152:153], v[176:177], v[96:99]// 0000000090F4: D3F30060 0D836198
	buffer_load_dwordx4 a[68:71], v40, s[24:27], 0 offen offset:1024// 0000000090FC: E05C1400 80864428
	v_mfma_f32_16x16x32_fp8_fp8 v[96:99], a[154:155], v[178:179], v[96:99]// 000000009104: D3F30060 0D83659A
	ds_read_b64 v[216:217], v13 offset:6144                    // 00000000910C: D8EC1800 D800000D
	ds_read_b64 v[218:219], v13 offset:6272                    // 000000009114: D8EC1880 DA00000D
	v_mfma_f32_16x16x32_fp8_fp8 v[96:99], a[156:157], v[180:181], v[96:99]// 00000000911C: D3F30060 0D83699C
	v_mfma_f32_16x16x32_fp8_fp8 v[96:99], a[158:159], v[182:183], v[96:99]// 000000009124: D3F30060 0D836D9E
	ds_read_b64 v[220:221], v13 offset:7168                    // 00000000912C: D8EC1C00 DC00000D
	ds_read_b64 v[222:223], v13 offset:7296                    // 000000009134: D8EC1C80 DE00000D
	v_mfma_f32_16x16x32_fp8_fp8 v[100:103], a[144:145], v[184:185], v[100:103]// 00000000913C: D3F30064 0D937190
	buffer_load_dwordx4 a[72:75], v40, s[24:27], 0 offen offset:2048// 000000009144: E05C1800 80864828
	v_mfma_f32_16x16x32_fp8_fp8 v[100:103], a[146:147], v[186:187], v[100:103]// 00000000914C: D3F30064 0D937592
	ds_read_b64 v[224:225], v13 offset:8192                    // 000000009154: D8EC2000 E000000D
	ds_read_b64 v[226:227], v13 offset:8320                    // 00000000915C: D8EC2080 E200000D
	v_mfma_f32_16x16x32_fp8_fp8 v[100:103], a[148:149], v[188:189], v[100:103]// 000000009164: D3F30064 0D937994
	v_mfma_f32_16x16x32_fp8_fp8 v[100:103], a[150:151], v[190:191], v[100:103]// 00000000916C: D3F30064 0D937D96
	ds_read_b64 v[228:229], v13 offset:9216                    // 000000009174: D8EC2400 E400000D
	ds_read_b64 v[230:231], v13 offset:9344                    // 00000000917C: D8EC2480 E600000D
	v_mfma_f32_16x16x32_fp8_fp8 v[100:103], a[152:153], v[192:193], v[100:103]// 000000009184: D3F30064 0D938198
	buffer_load_dwordx4 a[76:79], v40, s[24:27], 0 offen offset:3072// 00000000918C: E05C1C00 80864C28
	v_mfma_f32_16x16x32_fp8_fp8 v[100:103], a[154:155], v[194:195], v[100:103]// 000000009194: D3F30064 0D93859A
	v_mfma_f32_16x16x32_fp8_fp8 v[100:103], a[156:157], v[196:197], v[100:103]// 00000000919C: D3F30064 0D93899C
	v_mfma_f32_16x16x32_fp8_fp8 v[100:103], a[158:159], v[198:199], v[100:103]// 0000000091A4: D3F30064 0D938D9E
	s_add_u32 s60, 0x200, s80                                  // 0000000091AC: 803C50FF 00000200
	s_cmp_lt_u32 s60, s81                                      // 0000000091B4: BF0A513C
	s_cselect_b32 s57, s57, 0                                  // 0000000091B8: 85398039
	s_cselect_b32 s91, s91, 0                                  // 0000000091BC: 855B805B
	s_add_u32 s60, 0x200, s80                                  // 0000000091C0: 803C50FF 00000200
	s_cmp_lt_u32 s60, s81                                      // 0000000091C8: BF0A513C
	s_cselect_b32 s58, s58, 0                                  // 0000000091CC: 853A803A
	s_add_u32 s20, s57, s20                                    // 0000000091D0: 80141439
	s_addc_u32 s21, 0, s21                                     // 0000000091D4: 82151580
	s_add_u32 s28, s91, s28                                    // 0000000091D8: 801C1C5B
	s_addc_u32 s29, 0, s29                                     // 0000000091DC: 821D1D80
	s_add_u32 s24, s58, s24                                    // 0000000091E0: 8018183A
	s_addc_u32 s25, 0, s25                                     // 0000000091E4: 82191980
	s_add_u32 s92, s90, s92                                    // 0000000091E8: 805C5C5A
	s_addc_u32 s93, 0, s93                                     // 0000000091EC: 825D5D80
	v_mov_b32_e32 v42, v24                                     // 0000000091F0: 7E540318
	v_mov_b32_e32 v44, v25                                     // 0000000091F4: 7E580319
	v_mov_b32_e32 v43, v42                                     // 0000000091F8: 7E56032A
	v_mov_b32_e32 v45, v44                                     // 0000000091FC: 7E5A032C
	v_pk_mul_f32 v[64:65], v[42:43], v[64:65]                  // 000000009200: D3B14040 1802812A
	v_pk_mul_f32 v[66:67], v[42:43], v[66:67]                  // 000000009208: D3B14042 1802852A
	v_pk_mul_f32 v[68:69], v[44:45], v[68:69]                  // 000000009210: D3B14044 1802892C
	v_pk_mul_f32 v[70:71], v[44:45], v[70:71]                  // 000000009218: D3B14046 18028D2C
	v_pk_mul_f32 v[72:73], v[42:43], v[72:73]                  // 000000009220: D3B14048 1802912A
	v_pk_mul_f32 v[74:75], v[42:43], v[74:75]                  // 000000009228: D3B1404A 1802952A
	v_pk_mul_f32 v[76:77], v[44:45], v[76:77]                  // 000000009230: D3B1404C 1802992C
	v_pk_mul_f32 v[78:79], v[44:45], v[78:79]                  // 000000009238: D3B1404E 18029D2C
	v_pk_mul_f32 v[80:81], v[42:43], v[80:81]                  // 000000009240: D3B14050 1802A12A
	v_pk_mul_f32 v[82:83], v[42:43], v[82:83]                  // 000000009248: D3B14052 1802A52A
	v_pk_mul_f32 v[84:85], v[44:45], v[84:85]                  // 000000009250: D3B14054 1802A92C
	v_pk_mul_f32 v[86:87], v[44:45], v[86:87]                  // 000000009258: D3B14056 1802AD2C
	v_pk_mul_f32 v[88:89], v[42:43], v[88:89]                  // 000000009260: D3B14058 1802B12A
	v_pk_mul_f32 v[90:91], v[42:43], v[90:91]                  // 000000009268: D3B1405A 1802B52A
	v_pk_mul_f32 v[92:93], v[44:45], v[92:93]                  // 000000009270: D3B1405C 1802B92C
	v_pk_mul_f32 v[94:95], v[44:45], v[94:95]                  // 000000009278: D3B1405E 1802BD2C
	v_pk_mul_f32 v[96:97], v[42:43], v[96:97]                  // 000000009280: D3B14060 1802C12A
	v_pk_mul_f32 v[98:99], v[42:43], v[98:99]                  // 000000009288: D3B14062 1802C52A
	v_pk_mul_f32 v[100:101], v[44:45], v[100:101]              // 000000009290: D3B14064 1802C92C
	v_pk_mul_f32 v[102:103], v[44:45], v[102:103]              // 000000009298: D3B14066 1802CD2C
	s_addk_i32 s80, 0x100                                      // 0000000092A0: B7500100
	s_cmp_lt_i32 s80, s81                                      // 0000000092A4: BF045150
	s_cbranch_scc0 label_1D2A                                  // 0000000092A8: BF8403FF
	v_rcp_f32_e32 v42, v26                                     // 0000000092AC: 7E54451A
	v_rcp_f32_e32 v44, v27                                     // 0000000092B0: 7E58451B
	v_mov_b32_e32 v43, v42                                     // 0000000092B4: 7E56032A
	v_mov_b32_e32 v45, v44                                     // 0000000092B8: 7E5A032C
	v_pk_mul_f32 v[128:129], v[42:43], v[128:129]              // 0000000092BC: D3B14080 1803012A
	v_pk_mul_f32 v[130:131], v[42:43], v[130:131]              // 0000000092C4: D3B14082 1803052A
	v_pk_mul_f32 v[132:133], v[44:45], v[132:133]              // 0000000092CC: D3B14084 1803092C
	v_pk_mul_f32 v[134:135], v[44:45], v[134:135]              // 0000000092D4: D3B14086 18030D2C
	v_pk_mul_f32 v[136:137], v[42:43], v[136:137]              // 0000000092DC: D3B14088 1803112A
	v_pk_mul_f32 v[138:139], v[42:43], v[138:139]              // 0000000092E4: D3B1408A 1803152A
	v_pk_mul_f32 v[140:141], v[44:45], v[140:141]              // 0000000092EC: D3B1408C 1803192C
	v_pk_mul_f32 v[142:143], v[44:45], v[142:143]              // 0000000092F4: D3B1408E 18031D2C
	v_pk_mul_f32 v[144:145], v[42:43], v[144:145]              // 0000000092FC: D3B14090 1803212A
	v_pk_mul_f32 v[146:147], v[42:43], v[146:147]              // 000000009304: D3B14092 1803252A
	v_pk_mul_f32 v[148:149], v[44:45], v[148:149]              // 00000000930C: D3B14094 1803292C
	v_pk_mul_f32 v[150:151], v[44:45], v[150:151]              // 000000009314: D3B14096 18032D2C
	v_pk_mul_f32 v[152:153], v[42:43], v[152:153]              // 00000000931C: D3B14098 1803312A
	v_pk_mul_f32 v[154:155], v[42:43], v[154:155]              // 000000009324: D3B1409A 1803352A
	v_pk_mul_f32 v[156:157], v[44:45], v[156:157]              // 00000000932C: D3B1409C 1803392C
	v_pk_mul_f32 v[158:159], v[44:45], v[158:159]              // 000000009334: D3B1409E 18033D2C
	v_pk_mul_f32 v[160:161], v[42:43], v[160:161]              // 00000000933C: D3B140A0 1803412A
	v_pk_mul_f32 v[162:163], v[42:43], v[162:163]              // 000000009344: D3B140A2 1803452A
	v_pk_mul_f32 v[164:165], v[44:45], v[164:165]              // 00000000934C: D3B140A4 1803492C
	v_pk_mul_f32 v[166:167], v[44:45], v[166:167]              // 000000009354: D3B140A6 18034D2C
	s_waitcnt vmcnt(12) lgkmcnt(0)                             // 00000000935C: BF8C007C
	s_barrier                                                  // 000000009360: BF8A0000
	v_mfma_f32_16x16x32_fp8_fp8 v[128:131], a[0:1], v[200:201], v[128:131]// 000000009364: D3F30080 0E039100
	buffer_load_dwordx4 a[80:83], v36, s[92:95], 0 offen       // 00000000936C: E05C1000 80975024
	v_mfma_f32_16x16x32_fp8_fp8 v[128:131], a[2:3], v[202:203], v[128:131]// 000000009374: D3F30080 0E039502
	v_mfma_f32_16x16x32_fp8_fp8 v[128:131], a[4:5], v[204:205], v[128:131]// 00000000937C: D3F30080 0E039904
	buffer_load_dword v28, s[20:23], 0 offen lds               // 000000009384: E0511000 8005001C
	buffer_load_dword v28, s[20:23], 0 offen offset:256 lds    // 00000000938C: E0511100 8005001C
	s_add_u32 m0, 0x820, s50                                   // 000000009394: 807C32FF 00000820
	v_mfma_f32_16x16x32_fp8_fp8 v[128:131], a[6:7], v[206:207], v[128:131]// 00000000939C: D3F30080 0E039D06
	v_mfma_f32_16x16x32_fp8_fp8 v[128:131], a[8:9], v[208:209], v[128:131]// 0000000093A4: D3F30080 0E03A108
	buffer_load_dwordx4 a[84:87], v36, s[92:95], 0 offen offset:1024// 0000000093AC: E05C1400 80975424
	v_mfma_f32_16x16x32_fp8_fp8 v[128:131], a[10:11], v[210:211], v[128:131]// 0000000093B4: D3F30080 0E03A50A
	v_mfma_f32_16x16x32_fp8_fp8 v[128:131], a[12:13], v[212:213], v[128:131]// 0000000093BC: D3F30080 0E03A90C
	buffer_load_dword v29, s[20:23], 0 offen lds               // 0000000093C4: E0511000 8005001D
	buffer_load_dword v29, s[20:23], 0 offen offset:256 lds    // 0000000093CC: E0511100 8005001D
	s_add_u32 m0, 0x1040, s50                                  // 0000000093D4: 807C32FF 00001040
	v_mfma_f32_16x16x32_fp8_fp8 v[128:131], a[14:15], v[214:215], v[128:131]// 0000000093DC: D3F30080 0E03AD0E
	v_mfma_f32_16x16x32_fp8_fp8 v[132:135], a[0:1], v[216:217], v[132:135]// 0000000093E4: D3F30084 0E13B100
	buffer_load_dwordx4 a[88:91], v36, s[92:95], 0 offen offset:2048// 0000000093EC: E05C1800 80975824
	v_mfma_f32_16x16x32_fp8_fp8 v[132:135], a[2:3], v[218:219], v[132:135]// 0000000093F4: D3F30084 0E13B502
	v_mfma_f32_16x16x32_fp8_fp8 v[132:135], a[4:5], v[220:221], v[132:135]// 0000000093FC: D3F30084 0E13B904
	buffer_load_dword v30, s[20:23], 0 offen lds               // 000000009404: E0511000 8005001E
	buffer_load_dword v30, s[20:23], 0 offen offset:256 lds    // 00000000940C: E0511100 8005001E
	s_add_u32 m0, 0x1860, s50                                  // 000000009414: 807C32FF 00001860
	v_mfma_f32_16x16x32_fp8_fp8 v[132:135], a[6:7], v[222:223], v[132:135]// 00000000941C: D3F30084 0E13BD06
	v_mfma_f32_16x16x32_fp8_fp8 v[132:135], a[8:9], v[224:225], v[132:135]// 000000009424: D3F30084 0E13C108
	buffer_load_dwordx4 a[92:95], v36, s[92:95], 0 offen offset:3072// 00000000942C: E05C1C00 80975C24
	v_mfma_f32_16x16x32_fp8_fp8 v[132:135], a[10:11], v[226:227], v[132:135]// 000000009434: D3F30084 0E13C50A
	v_mfma_f32_16x16x32_fp8_fp8 v[132:135], a[12:13], v[228:229], v[132:135]// 00000000943C: D3F30084 0E13C90C
	buffer_load_dword v31, s[20:23], 0 offen lds               // 000000009444: E0511000 8005001F
	buffer_load_dword v31, s[20:23], 0 offen offset:256 lds    // 00000000944C: E0511100 8005001F
	s_add_u32 m0, 0x2080, s50                                  // 000000009454: 807C32FF 00002080
	v_mfma_f32_16x16x32_fp8_fp8 v[132:135], a[14:15], v[230:231], v[132:135]// 00000000945C: D3F30084 0E13CD0E
	v_mfma_f32_16x16x32_fp8_fp8 v[136:139], a[16:17], v[200:201], v[136:139]// 000000009464: D3F30088 0E239110
	buffer_load_dwordx4 a[96:99], v37, s[92:95], 0 offen       // 00000000946C: E05C1000 80976025
	v_mfma_f32_16x16x32_fp8_fp8 v[136:139], a[18:19], v[202:203], v[136:139]// 000000009474: D3F30088 0E239512
	v_mfma_f32_16x16x32_fp8_fp8 v[136:139], a[20:21], v[204:205], v[136:139]// 00000000947C: D3F30088 0E239914
	buffer_load_dword v32, s[20:23], 0 offen lds               // 000000009484: E0511000 80050020
	buffer_load_dword v32, s[20:23], 0 offen offset:256 lds    // 00000000948C: E0511100 80050020
	s_add_u32 m0, 0x28a0, s50                                  // 000000009494: 807C32FF 000028A0
	v_mfma_f32_16x16x32_fp8_fp8 v[136:139], a[22:23], v[206:207], v[136:139]// 00000000949C: D3F30088 0E239D16
	v_mfma_f32_16x16x32_fp8_fp8 v[136:139], a[24:25], v[208:209], v[136:139]// 0000000094A4: D3F30088 0E23A118
	buffer_load_dwordx4 a[100:103], v37, s[92:95], 0 offen offset:1024// 0000000094AC: E05C1400 80976425
	v_mfma_f32_16x16x32_fp8_fp8 v[136:139], a[26:27], v[210:211], v[136:139]// 0000000094B4: D3F30088 0E23A51A
	v_mfma_f32_16x16x32_fp8_fp8 v[136:139], a[28:29], v[212:213], v[136:139]// 0000000094BC: D3F30088 0E23A91C
	buffer_load_dword v33, s[20:23], 0 offen lds               // 0000000094C4: E0511000 80050021
	buffer_load_dword v33, s[20:23], 0 offen offset:256 lds    // 0000000094CC: E0511100 80050021
	s_add_u32 m0, 0x30c0, s50                                  // 0000000094D4: 807C32FF 000030C0
	v_mfma_f32_16x16x32_fp8_fp8 v[136:139], a[30:31], v[214:215], v[136:139]// 0000000094DC: D3F30088 0E23AD1E
	v_mfma_f32_16x16x32_fp8_fp8 v[140:143], a[16:17], v[216:217], v[140:143]// 0000000094E4: D3F3008C 0E33B110
	buffer_load_dwordx4 a[104:107], v37, s[92:95], 0 offen offset:2048// 0000000094EC: E05C1800 80976825
	v_mfma_f32_16x16x32_fp8_fp8 v[140:143], a[18:19], v[218:219], v[140:143]// 0000000094F4: D3F3008C 0E33B512
	v_mfma_f32_16x16x32_fp8_fp8 v[140:143], a[20:21], v[220:221], v[140:143]// 0000000094FC: D3F3008C 0E33B914
	buffer_load_dword v34, s[20:23], 0 offen lds               // 000000009504: E0511000 80050022
	buffer_load_dword v34, s[20:23], 0 offen offset:256 lds    // 00000000950C: E0511100 80050022
	s_add_u32 m0, 0x38e0, s50                                  // 000000009514: 807C32FF 000038E0
	v_mfma_f32_16x16x32_fp8_fp8 v[140:143], a[22:23], v[222:223], v[140:143]// 00000000951C: D3F3008C 0E33BD16
	v_mfma_f32_16x16x32_fp8_fp8 v[140:143], a[24:25], v[224:225], v[140:143]// 000000009524: D3F3008C 0E33C118
	buffer_load_dwordx4 a[108:111], v37, s[92:95], 0 offen offset:3072// 00000000952C: E05C1C00 80976C25
	v_mfma_f32_16x16x32_fp8_fp8 v[140:143], a[26:27], v[226:227], v[140:143]// 000000009534: D3F3008C 0E33C51A
	v_mfma_f32_16x16x32_fp8_fp8 v[140:143], a[28:29], v[228:229], v[140:143]// 00000000953C: D3F3008C 0E33C91C
	buffer_load_dword v35, s[20:23], 0 offen lds               // 000000009544: E0511000 80050023
	buffer_load_dword v35, s[20:23], 0 offen offset:256 lds    // 00000000954C: E0511100 80050023
	s_add_u32 m0, 0, s51                                       // 000000009554: 807C3380
	v_mfma_f32_16x16x32_fp8_fp8 v[140:143], a[30:31], v[230:231], v[140:143]// 000000009558: D3F3008C 0E33CD1E
	buffer_load_dword v14, v6, s[28:31], 0 offen               // 000000009560: E0501000 80070E06
	s_waitcnt vmcnt(33)                                        // 000000009568: BF8C8F71
	v_mfma_f32_16x16x32_fp8_fp8 v[144:147], a[32:33], v[200:201], v[144:147]// 00000000956C: D3F30090 0E439120
	buffer_load_dwordx4 a[112:115], v38, s[92:95], 0 offen     // 000000009574: E05C1000 80977026
	v_mfma_f32_16x16x32_fp8_fp8 v[144:147], a[34:35], v[202:203], v[144:147]// 00000000957C: D3F30090 0E439522
	v_mfma_f32_16x16x32_fp8_fp8 v[144:147], a[36:37], v[204:205], v[144:147]// 000000009584: D3F30090 0E439924
	v_mfma_f32_16x16x32_fp8_fp8 v[144:147], a[38:39], v[206:207], v[144:147]// 00000000958C: D3F30090 0E439D26
	v_mfma_f32_16x16x32_fp8_fp8 v[144:147], a[40:41], v[208:209], v[144:147]// 000000009594: D3F30090 0E43A128
	buffer_load_dwordx4 a[116:119], v38, s[92:95], 0 offen offset:1024// 00000000959C: E05C1400 80977426
	v_mfma_f32_16x16x32_fp8_fp8 v[144:147], a[42:43], v[210:211], v[144:147]// 0000000095A4: D3F30090 0E43A52A
	v_mfma_f32_16x16x32_fp8_fp8 v[144:147], a[44:45], v[212:213], v[144:147]// 0000000095AC: D3F30090 0E43A92C
	v_mfma_f32_16x16x32_fp8_fp8 v[144:147], a[46:47], v[214:215], v[144:147]// 0000000095B4: D3F30090 0E43AD2E
	v_mfma_f32_16x16x32_fp8_fp8 v[148:151], a[32:33], v[216:217], v[148:151]// 0000000095BC: D3F30094 0E53B120
	buffer_load_dwordx4 a[120:123], v38, s[92:95], 0 offen offset:2048// 0000000095C4: E05C1800 80977826
	v_mfma_f32_16x16x32_fp8_fp8 v[148:151], a[34:35], v[218:219], v[148:151]// 0000000095CC: D3F30094 0E53B522
	v_mfma_f32_16x16x32_fp8_fp8 v[148:151], a[36:37], v[220:221], v[148:151]// 0000000095D4: D3F30094 0E53B924
	v_mfma_f32_16x16x32_fp8_fp8 v[148:151], a[38:39], v[222:223], v[148:151]// 0000000095DC: D3F30094 0E53BD26
	v_mfma_f32_16x16x32_fp8_fp8 v[148:151], a[40:41], v[224:225], v[148:151]// 0000000095E4: D3F30094 0E53C128
	buffer_load_dwordx4 a[124:127], v38, s[92:95], 0 offen offset:3072// 0000000095EC: E05C1C00 80977C26
	v_mfma_f32_16x16x32_fp8_fp8 v[148:151], a[42:43], v[226:227], v[148:151]// 0000000095F4: D3F30094 0E53C52A
	v_mfma_f32_16x16x32_fp8_fp8 v[148:151], a[44:45], v[228:229], v[148:151]// 0000000095FC: D3F30094 0E53C92C
	v_mfma_f32_16x16x32_fp8_fp8 v[148:151], a[46:47], v[230:231], v[148:151]// 000000009604: D3F30094 0E53CD2E
	s_waitcnt vmcnt(33)                                        // 00000000960C: BF8C8F71
	v_mfma_f32_16x16x32_fp8_fp8 v[152:155], a[48:49], v[200:201], v[152:155]// 000000009610: D3F30098 0E639130
	buffer_load_dwordx4 a[128:131], v39, s[92:95], 0 offen     // 000000009618: E05C1000 80978027
	v_mfma_f32_16x16x32_fp8_fp8 v[152:155], a[50:51], v[202:203], v[152:155]// 000000009620: D3F30098 0E639532
	v_mfma_f32_16x16x32_fp8_fp8 v[152:155], a[52:53], v[204:205], v[152:155]// 000000009628: D3F30098 0E639934
	v_mfma_f32_16x16x32_fp8_fp8 v[152:155], a[54:55], v[206:207], v[152:155]// 000000009630: D3F30098 0E639D36
	v_mfma_f32_16x16x32_fp8_fp8 v[152:155], a[56:57], v[208:209], v[152:155]// 000000009638: D3F30098 0E63A138
	buffer_load_dwordx4 a[132:135], v39, s[92:95], 0 offen offset:1024// 000000009640: E05C1400 80978427
	v_mfma_f32_16x16x32_fp8_fp8 v[152:155], a[58:59], v[210:211], v[152:155]// 000000009648: D3F30098 0E63A53A
	v_mfma_f32_16x16x32_fp8_fp8 v[152:155], a[60:61], v[212:213], v[152:155]// 000000009650: D3F30098 0E63A93C
	v_mfma_f32_16x16x32_fp8_fp8 v[152:155], a[62:63], v[214:215], v[152:155]// 000000009658: D3F30098 0E63AD3E
	v_mfma_f32_16x16x32_fp8_fp8 v[156:159], a[48:49], v[216:217], v[156:159]// 000000009660: D3F3009C 0E73B130
	buffer_load_dwordx4 a[136:139], v39, s[92:95], 0 offen offset:2048// 000000009668: E05C1800 80978827
	v_mfma_f32_16x16x32_fp8_fp8 v[156:159], a[50:51], v[218:219], v[156:159]// 000000009670: D3F3009C 0E73B532
	v_mfma_f32_16x16x32_fp8_fp8 v[156:159], a[52:53], v[220:221], v[156:159]// 000000009678: D3F3009C 0E73B934
	v_mfma_f32_16x16x32_fp8_fp8 v[156:159], a[54:55], v[222:223], v[156:159]// 000000009680: D3F3009C 0E73BD36
	v_mfma_f32_16x16x32_fp8_fp8 v[156:159], a[56:57], v[224:225], v[156:159]// 000000009688: D3F3009C 0E73C138
	buffer_load_dwordx4 a[140:143], v39, s[92:95], 0 offen offset:3072// 000000009690: E05C1C00 80978C27
	v_mfma_f32_16x16x32_fp8_fp8 v[156:159], a[58:59], v[226:227], v[156:159]// 000000009698: D3F3009C 0E73C53A
	v_mfma_f32_16x16x32_fp8_fp8 v[156:159], a[60:61], v[228:229], v[156:159]// 0000000096A0: D3F3009C 0E73C93C
	v_mfma_f32_16x16x32_fp8_fp8 v[156:159], a[62:63], v[230:231], v[156:159]// 0000000096A8: D3F3009C 0E73CD3E
	s_waitcnt vmcnt(33)                                        // 0000000096B0: BF8C8F71
	v_mfma_f32_16x16x32_fp8_fp8 v[160:163], a[64:65], v[200:201], v[160:163]// 0000000096B4: D3F300A0 0E839140
	buffer_load_dwordx4 a[144:147], v40, s[92:95], 0 offen     // 0000000096BC: E05C1000 80979028
	v_mfma_f32_16x16x32_fp8_fp8 v[160:163], a[66:67], v[202:203], v[160:163]// 0000000096C4: D3F300A0 0E839542
	v_mfma_f32_16x16x32_fp8_fp8 v[160:163], a[68:69], v[204:205], v[160:163]// 0000000096CC: D3F300A0 0E839944
	v_mfma_f32_16x16x32_fp8_fp8 v[160:163], a[70:71], v[206:207], v[160:163]// 0000000096D4: D3F300A0 0E839D46
	v_mfma_f32_16x16x32_fp8_fp8 v[160:163], a[72:73], v[208:209], v[160:163]// 0000000096DC: D3F300A0 0E83A148
	buffer_load_dwordx4 a[148:151], v40, s[92:95], 0 offen offset:1024// 0000000096E4: E05C1400 80979428
	v_mfma_f32_16x16x32_fp8_fp8 v[160:163], a[74:75], v[210:211], v[160:163]// 0000000096EC: D3F300A0 0E83A54A
	v_mfma_f32_16x16x32_fp8_fp8 v[160:163], a[76:77], v[212:213], v[160:163]// 0000000096F4: D3F300A0 0E83A94C
	v_mfma_f32_16x16x32_fp8_fp8 v[160:163], a[78:79], v[214:215], v[160:163]// 0000000096FC: D3F300A0 0E83AD4E
	v_mfma_f32_16x16x32_fp8_fp8 v[164:167], a[64:65], v[216:217], v[164:167]// 000000009704: D3F300A4 0E93B140
	buffer_load_dwordx4 a[152:155], v40, s[92:95], 0 offen offset:2048// 00000000970C: E05C1800 80979828
	v_mfma_f32_16x16x32_fp8_fp8 v[164:167], a[66:67], v[218:219], v[164:167]// 000000009714: D3F300A4 0E93B542
	v_mfma_f32_16x16x32_fp8_fp8 v[164:167], a[68:69], v[220:221], v[164:167]// 00000000971C: D3F300A4 0E93B944
	v_mfma_f32_16x16x32_fp8_fp8 v[164:167], a[70:71], v[222:223], v[164:167]// 000000009724: D3F300A4 0E93BD46
	v_mfma_f32_16x16x32_fp8_fp8 v[164:167], a[72:73], v[224:225], v[164:167]// 00000000972C: D3F300A4 0E93C148
	buffer_load_dwordx4 a[156:159], v40, s[92:95], 0 offen offset:3072// 000000009734: E05C1C00 80979C28
	v_mfma_f32_16x16x32_fp8_fp8 v[164:167], a[74:75], v[226:227], v[164:167]// 00000000973C: D3F300A4 0E93C54A
	v_mfma_f32_16x16x32_fp8_fp8 v[164:167], a[76:77], v[228:229], v[164:167]// 000000009744: D3F300A4 0E93C94C
	v_mfma_f32_16x16x32_fp8_fp8 v[164:167], a[78:79], v[230:231], v[164:167]// 00000000974C: D3F300A4 0E93CD4E
	v_mov_b32_e32 v42, v26                                     // 000000009754: 7E54031A
	v_mov_b32_e32 v44, v27                                     // 000000009758: 7E58031B
	v_mov_b32_e32 v43, v42                                     // 00000000975C: 7E56032A
	v_mov_b32_e32 v45, v44                                     // 000000009760: 7E5A032C
	v_pk_mul_f32 v[128:129], v[42:43], v[128:129]              // 000000009764: D3B14080 1803012A
	v_pk_mul_f32 v[130:131], v[42:43], v[130:131]              // 00000000976C: D3B14082 1803052A
	v_pk_mul_f32 v[132:133], v[44:45], v[132:133]              // 000000009774: D3B14084 1803092C
	v_pk_mul_f32 v[134:135], v[44:45], v[134:135]              // 00000000977C: D3B14086 18030D2C
	v_pk_mul_f32 v[136:137], v[42:43], v[136:137]              // 000000009784: D3B14088 1803112A
	v_pk_mul_f32 v[138:139], v[42:43], v[138:139]              // 00000000978C: D3B1408A 1803152A
	v_pk_mul_f32 v[140:141], v[44:45], v[140:141]              // 000000009794: D3B1408C 1803192C
	v_pk_mul_f32 v[142:143], v[44:45], v[142:143]              // 00000000979C: D3B1408E 18031D2C
	v_pk_mul_f32 v[144:145], v[42:43], v[144:145]              // 0000000097A4: D3B14090 1803212A
	v_pk_mul_f32 v[146:147], v[42:43], v[146:147]              // 0000000097AC: D3B14092 1803252A
	v_pk_mul_f32 v[148:149], v[44:45], v[148:149]              // 0000000097B4: D3B14094 1803292C
	v_pk_mul_f32 v[150:151], v[44:45], v[150:151]              // 0000000097BC: D3B14096 18032D2C
	v_pk_mul_f32 v[152:153], v[42:43], v[152:153]              // 0000000097C4: D3B14098 1803312A
	v_pk_mul_f32 v[154:155], v[42:43], v[154:155]              // 0000000097CC: D3B1409A 1803352A
	v_pk_mul_f32 v[156:157], v[44:45], v[156:157]              // 0000000097D4: D3B1409C 1803392C
	v_pk_mul_f32 v[158:159], v[44:45], v[158:159]              // 0000000097DC: D3B1409E 18033D2C
	v_pk_mul_f32 v[160:161], v[42:43], v[160:161]              // 0000000097E4: D3B140A0 1803412A
	v_pk_mul_f32 v[162:163], v[42:43], v[162:163]              // 0000000097EC: D3B140A2 1803452A
	v_pk_mul_f32 v[164:165], v[44:45], v[164:165]              // 0000000097F4: D3B140A4 1803492C
	v_pk_mul_f32 v[166:167], v[44:45], v[166:167]              // 0000000097FC: D3B140A6 18034D2C
	v_rcp_f32_e32 v42, v26                                     // 000000009804: 7E54451A
	v_rcp_f32_e32 v44, v27                                     // 000000009808: 7E58451B
	v_mov_b32_e32 v43, v42                                     // 00000000980C: 7E56032A
	v_mov_b32_e32 v45, v44                                     // 000000009810: 7E5A032C
	v_pk_mul_f32 v[64:65], v[42:43], v[64:65]                  // 000000009814: D3B14040 1802812A
	v_pk_mul_f32 v[66:67], v[42:43], v[66:67]                  // 00000000981C: D3B14042 1802852A
	v_pk_mul_f32 v[68:69], v[44:45], v[68:69]                  // 000000009824: D3B14044 1802892C
	v_pk_mul_f32 v[70:71], v[44:45], v[70:71]                  // 00000000982C: D3B14046 18028D2C
	v_pk_mul_f32 v[72:73], v[42:43], v[72:73]                  // 000000009834: D3B14048 1802912A
	v_pk_mul_f32 v[74:75], v[42:43], v[74:75]                  // 00000000983C: D3B1404A 1802952A
	v_pk_mul_f32 v[76:77], v[44:45], v[76:77]                  // 000000009844: D3B1404C 1802992C
	v_pk_mul_f32 v[78:79], v[44:45], v[78:79]                  // 00000000984C: D3B1404E 18029D2C
	v_pk_mul_f32 v[80:81], v[42:43], v[80:81]                  // 000000009854: D3B14050 1802A12A
	v_pk_mul_f32 v[82:83], v[42:43], v[82:83]                  // 00000000985C: D3B14052 1802A52A
	v_pk_mul_f32 v[84:85], v[44:45], v[84:85]                  // 000000009864: D3B14054 1802A92C
	v_pk_mul_f32 v[86:87], v[44:45], v[86:87]                  // 00000000986C: D3B14056 1802AD2C
	v_pk_mul_f32 v[88:89], v[42:43], v[88:89]                  // 000000009874: D3B14058 1802B12A
	v_pk_mul_f32 v[90:91], v[42:43], v[90:91]                  // 00000000987C: D3B1405A 1802B52A
	v_pk_mul_f32 v[92:93], v[44:45], v[92:93]                  // 000000009884: D3B1405C 1802B92C
	v_pk_mul_f32 v[94:95], v[44:45], v[94:95]                  // 00000000988C: D3B1405E 1802BD2C
	v_pk_mul_f32 v[96:97], v[42:43], v[96:97]                  // 000000009894: D3B14060 1802C12A
	v_pk_mul_f32 v[98:99], v[42:43], v[98:99]                  // 00000000989C: D3B14062 1802C52A
	v_pk_mul_f32 v[100:101], v[44:45], v[100:101]              // 0000000098A4: D3B14064 1802C92C
	v_pk_mul_f32 v[102:103], v[44:45], v[102:103]              // 0000000098AC: D3B14066 1802CD2C
	s_waitcnt vmcnt(12)                                        // 0000000098B4: BF8C0F7C
	s_barrier                                                  // 0000000098B8: BF8A0000
	v_mfma_f32_16x16x32_fp8_fp8 v[64:67], a[80:81], v[200:201], v[64:67]// 0000000098BC: D3F30040 0D039150
	buffer_load_dwordx4 a[0:3], v36, s[24:27], 0 offen         // 0000000098C4: E05C1000 80860024
	v_mfma_f32_16x16x32_fp8_fp8 v[64:67], a[82:83], v[202:203], v[64:67]// 0000000098CC: D3F30040 0D039552
	ds_read_b64 v[168:169], v2 offset:2048                     // 0000000098D4: D8EC0800 A8000002
	ds_read_b64 v[172:173], v2 offset:10368                    // 0000000098DC: D8EC2880 AC000002
	v_mfma_f32_16x16x32_fp8_fp8 v[64:67], a[84:85], v[204:205], v[64:67]// 0000000098E4: D3F30040 0D039954
	v_mfma_f32_16x16x32_fp8_fp8 v[64:67], a[86:87], v[206:207], v[64:67]// 0000000098EC: D3F30040 0D039D56
	ds_read_b64 v[176:177], v2 offset:2176                     // 0000000098F4: D8EC0880 B0000002
	ds_read_b64 v[180:181], v2 offset:10496                    // 0000000098FC: D8EC2900 B4000002
	v_mfma_f32_16x16x32_fp8_fp8 v[64:67], a[88:89], v[208:209], v[64:67]// 000000009904: D3F30040 0D03A158
	buffer_load_dwordx4 a[4:7], v36, s[24:27], 0 offen offset:1024// 00000000990C: E05C1400 80860424
	v_mfma_f32_16x16x32_fp8_fp8 v[64:67], a[90:91], v[210:211], v[64:67]// 000000009914: D3F30040 0D03A55A
	ds_read_b64 v[184:185], v2 offset:2304                     // 00000000991C: D8EC0900 B8000002
	ds_read_b64 v[188:189], v2 offset:10624                    // 000000009924: D8EC2980 BC000002
	v_mfma_f32_16x16x32_fp8_fp8 v[64:67], a[92:93], v[212:213], v[64:67]// 00000000992C: D3F30040 0D03A95C
	v_mfma_f32_16x16x32_fp8_fp8 v[64:67], a[94:95], v[214:215], v[64:67]// 000000009934: D3F30040 0D03AD5E
	ds_read_b64 v[192:193], v2 offset:2432                     // 00000000993C: D8EC0980 C0000002
	ds_read_b64 v[196:197], v2 offset:10752                    // 000000009944: D8EC2A00 C4000002
	s_waitcnt lgkmcnt(4)                                       // 00000000994C: BF8CC47F
	v_and_b32_e32 v171, 0xffff0000, v169                       // 000000009950: 275752FF FFFF0000
	v_lshlrev_b32_e32 v170, 16, v169                           // 000000009958: 25555290
	v_and_b32_e32 v169, 0xffff0000, v168                       // 00000000995C: 275350FF FFFF0000
	v_lshlrev_b32_e32 v168, 16, v168                           // 000000009964: 25515090
	v_and_b32_e32 v175, 0xffff0000, v173                       // 000000009968: 275F5AFF FFFF0000
	v_lshlrev_b32_e32 v174, 16, v173                           // 000000009970: 255D5A90
	v_and_b32_e32 v173, 0xffff0000, v172                       // 000000009974: 275B58FF FFFF0000
	v_lshlrev_b32_e32 v172, 16, v172                           // 00000000997C: 25595890
	v_and_b32_e32 v179, 0xffff0000, v177                       // 000000009980: 276762FF FFFF0000
	v_lshlrev_b32_e32 v178, 16, v177                           // 000000009988: 25656290
	v_and_b32_e32 v177, 0xffff0000, v176                       // 00000000998C: 276360FF FFFF0000
	v_lshlrev_b32_e32 v176, 16, v176                           // 000000009994: 25616090
	v_and_b32_e32 v183, 0xffff0000, v181                       // 000000009998: 276F6AFF FFFF0000
	v_lshlrev_b32_e32 v182, 16, v181                           // 0000000099A0: 256D6A90
	v_and_b32_e32 v181, 0xffff0000, v180                       // 0000000099A4: 276B68FF FFFF0000
	v_lshlrev_b32_e32 v180, 16, v180                           // 0000000099AC: 25696890
	v_mul_f32_dpp v168, v14, v168 row_newbcast:0 row_mask:0xf bank_mask:0xf// 0000000099B0: 0B5150FA FF01500E
	v_mul_f32_dpp v169, v14, v169 row_newbcast:1 row_mask:0xf bank_mask:0xf// 0000000099B8: 0B5352FA FF01510E
	v_mul_f32_dpp v170, v14, v170 row_newbcast:2 row_mask:0xf bank_mask:0xf// 0000000099C0: 0B5554FA FF01520E
	v_mul_f32_dpp v171, v14, v171 row_newbcast:3 row_mask:0xf bank_mask:0xf// 0000000099C8: 0B5756FA FF01530E
	v_mul_f32_dpp v172, v14, v172 row_newbcast:0 row_mask:0xf bank_mask:0xf// 0000000099D0: 0B5958FA FF01500E
	v_mul_f32_dpp v173, v14, v173 row_newbcast:1 row_mask:0xf bank_mask:0xf// 0000000099D8: 0B5B5AFA FF01510E
	v_mul_f32_dpp v174, v14, v174 row_newbcast:2 row_mask:0xf bank_mask:0xf// 0000000099E0: 0B5D5CFA FF01520E
	v_mul_f32_dpp v175, v14, v175 row_newbcast:3 row_mask:0xf bank_mask:0xf// 0000000099E8: 0B5F5EFA FF01530E
	v_mul_f32_dpp v176, v14, v176 row_newbcast:4 row_mask:0xf bank_mask:0xf// 0000000099F0: 0B6160FA FF01540E
	v_mul_f32_dpp v177, v14, v177 row_newbcast:5 row_mask:0xf bank_mask:0xf// 0000000099F8: 0B6362FA FF01550E
	v_mul_f32_dpp v178, v14, v178 row_newbcast:6 row_mask:0xf bank_mask:0xf// 000000009A00: 0B6564FA FF01560E
	v_mul_f32_dpp v179, v14, v179 row_newbcast:7 row_mask:0xf bank_mask:0xf// 000000009A08: 0B6766FA FF01570E
	v_mul_f32_dpp v180, v14, v180 row_newbcast:4 row_mask:0xf bank_mask:0xf// 000000009A10: 0B6968FA FF01540E
	v_mul_f32_dpp v181, v14, v181 row_newbcast:5 row_mask:0xf bank_mask:0xf// 000000009A18: 0B6B6AFA FF01550E
	v_mul_f32_dpp v182, v14, v182 row_newbcast:6 row_mask:0xf bank_mask:0xf// 000000009A20: 0B6D6CFA FF01560E
	v_mul_f32_dpp v183, v14, v183 row_newbcast:7 row_mask:0xf bank_mask:0xf// 000000009A28: 0B6F6EFA FF01570E
	v_mfma_f32_16x16x32_fp8_fp8 v[68:71], a[80:81], v[216:217], v[68:71]// 000000009A30: D3F30044 0D13B150
	buffer_load_dwordx4 a[8:11], v36, s[24:27], 0 offen offset:2048// 000000009A38: E05C1800 80860824
	v_mfma_f32_16x16x32_fp8_fp8 v[68:71], a[82:83], v[218:219], v[68:71]// 000000009A40: D3F30044 0D13B552
	v_mfma_f32_16x16x32_fp8_fp8 v[68:71], a[84:85], v[220:221], v[68:71]// 000000009A48: D3F30044 0D13B954
	v_mfma_f32_16x16x32_fp8_fp8 v[68:71], a[86:87], v[222:223], v[68:71]// 000000009A50: D3F30044 0D13BD56
	v_mfma_f32_16x16x32_fp8_fp8 v[68:71], a[88:89], v[224:225], v[68:71]// 000000009A58: D3F30044 0D13C158
	buffer_load_dwordx4 a[12:15], v36, s[24:27], 0 offen offset:3072// 000000009A60: E05C1C00 80860C24
	v_mfma_f32_16x16x32_fp8_fp8 v[68:71], a[90:91], v[226:227], v[68:71]// 000000009A68: D3F30044 0D13C55A
	v_mfma_f32_16x16x32_fp8_fp8 v[68:71], a[92:93], v[228:229], v[68:71]// 000000009A70: D3F30044 0D13C95C
	v_mfma_f32_16x16x32_fp8_fp8 v[68:71], a[94:95], v[230:231], v[68:71]// 000000009A78: D3F30044 0D13CD5E
	s_waitcnt lgkmcnt(0)                                       // 000000009A80: BF8CC07F
	v_and_b32_e32 v187, 0xffff0000, v185                       // 000000009A84: 277772FF FFFF0000
	v_lshlrev_b32_e32 v186, 16, v185                           // 000000009A8C: 25757290
	v_and_b32_e32 v185, 0xffff0000, v184                       // 000000009A90: 277370FF FFFF0000
	v_lshlrev_b32_e32 v184, 16, v184                           // 000000009A98: 25717090
	v_and_b32_e32 v191, 0xffff0000, v189                       // 000000009A9C: 277F7AFF FFFF0000
	v_lshlrev_b32_e32 v190, 16, v189                           // 000000009AA4: 257D7A90
	v_and_b32_e32 v189, 0xffff0000, v188                       // 000000009AA8: 277B78FF FFFF0000
	v_lshlrev_b32_e32 v188, 16, v188                           // 000000009AB0: 25797890
	v_and_b32_e32 v195, 0xffff0000, v193                       // 000000009AB4: 278782FF FFFF0000
	v_lshlrev_b32_e32 v194, 16, v193                           // 000000009ABC: 25858290
	v_and_b32_e32 v193, 0xffff0000, v192                       // 000000009AC0: 278380FF FFFF0000
	v_lshlrev_b32_e32 v192, 16, v192                           // 000000009AC8: 25818090
	v_and_b32_e32 v199, 0xffff0000, v197                       // 000000009ACC: 278F8AFF FFFF0000
	v_lshlrev_b32_e32 v198, 16, v197                           // 000000009AD4: 258D8A90
	v_and_b32_e32 v197, 0xffff0000, v196                       // 000000009AD8: 278B88FF FFFF0000
	v_lshlrev_b32_e32 v196, 16, v196                           // 000000009AE0: 25898890
	v_mul_f32_dpp v184, v14, v184 row_newbcast:8 row_mask:0xf bank_mask:0xf// 000000009AE4: 0B7170FA FF01580E
	v_mul_f32_dpp v185, v14, v185 row_newbcast:9 row_mask:0xf bank_mask:0xf// 000000009AEC: 0B7372FA FF01590E
	v_mul_f32_dpp v186, v14, v186 row_newbcast:10 row_mask:0xf bank_mask:0xf// 000000009AF4: 0B7574FA FF015A0E
	v_mul_f32_dpp v187, v14, v187 row_newbcast:11 row_mask:0xf bank_mask:0xf// 000000009AFC: 0B7776FA FF015B0E
	v_mul_f32_dpp v188, v14, v188 row_newbcast:8 row_mask:0xf bank_mask:0xf// 000000009B04: 0B7978FA FF01580E
	v_mul_f32_dpp v189, v14, v189 row_newbcast:9 row_mask:0xf bank_mask:0xf// 000000009B0C: 0B7B7AFA FF01590E
	v_mul_f32_dpp v190, v14, v190 row_newbcast:10 row_mask:0xf bank_mask:0xf// 000000009B14: 0B7D7CFA FF015A0E
	v_mul_f32_dpp v191, v14, v191 row_newbcast:11 row_mask:0xf bank_mask:0xf// 000000009B1C: 0B7F7EFA FF015B0E
	v_mul_f32_dpp v192, v14, v192 row_newbcast:12 row_mask:0xf bank_mask:0xf// 000000009B24: 0B8180FA FF015C0E
	v_mul_f32_dpp v193, v14, v193 row_newbcast:13 row_mask:0xf bank_mask:0xf// 000000009B2C: 0B8382FA FF015D0E
	v_mul_f32_dpp v194, v14, v194 row_newbcast:14 row_mask:0xf bank_mask:0xf// 000000009B34: 0B8584FA FF015E0E
	v_mul_f32_dpp v195, v14, v195 row_newbcast:15 row_mask:0xf bank_mask:0xf// 000000009B3C: 0B8786FA FF015F0E
	v_mul_f32_dpp v196, v14, v196 row_newbcast:12 row_mask:0xf bank_mask:0xf// 000000009B44: 0B8988FA FF015C0E
	v_mul_f32_dpp v197, v14, v197 row_newbcast:13 row_mask:0xf bank_mask:0xf// 000000009B4C: 0B8B8AFA FF015D0E
	v_mul_f32_dpp v198, v14, v198 row_newbcast:14 row_mask:0xf bank_mask:0xf// 000000009B54: 0B8D8CFA FF015E0E
	v_mul_f32_dpp v199, v14, v199 row_newbcast:15 row_mask:0xf bank_mask:0xf// 000000009B5C: 0B8F8EFA FF015F0E
	v_mfma_f32_16x16x32_fp8_fp8 v[72:75], a[96:97], v[200:201], v[72:75]// 000000009B64: D3F30048 0D239160
	buffer_load_dwordx4 a[16:19], v37, s[24:27], 0 offen       // 000000009B6C: E05C1000 80861025
	v_mfma_f32_16x16x32_fp8_fp8 v[72:75], a[98:99], v[202:203], v[72:75]// 000000009B74: D3F30048 0D239562
	v_mov_b32_e32 v46, 0x358637bd                              // 000000009B7C: 7E5C02FF 358637BD
	v_mov_b32_e32 v47, 0x358637bd                              // 000000009B84: 7E5E02FF 358637BD
	v_max3_f32 v46, |v168|, |v169|, v46                        // 000000009B8C: D1D3032E 04BB53A8
	v_max3_f32 v46, |v170|, |v171|, v46                        // 000000009B94: D1D3032E 04BB57AA
	v_max3_f32 v47, |v172|, |v173|, v47                        // 000000009B9C: D1D3032F 04BF5BAC
	v_max3_f32 v47, |v174|, |v175|, v47                        // 000000009BA4: D1D3032F 04BF5FAE
	v_max3_f32 v46, |v176|, |v177|, v46                        // 000000009BAC: D1D3032E 04BB63B0
	v_max3_f32 v46, |v178|, |v179|, v46                        // 000000009BB4: D1D3032E 04BB67B2
	v_max3_f32 v47, |v180|, |v181|, v47                        // 000000009BBC: D1D3032F 04BF6BB4
	v_max3_f32 v47, |v182|, |v183|, v47                        // 000000009BC4: D1D3032F 04BF6FB6
	v_max3_f32 v46, |v184|, |v185|, v46                        // 000000009BCC: D1D3032E 04BB73B8
	v_max3_f32 v46, |v186|, |v187|, v46                        // 000000009BD4: D1D3032E 04BB77BA
	v_max3_f32 v47, |v188|, |v189|, v47                        // 000000009BDC: D1D3032F 04BF7BBC
	v_max3_f32 v47, |v190|, |v191|, v47                        // 000000009BE4: D1D3032F 04BF7FBE
	v_max3_f32 v46, |v192|, |v193|, v46                        // 000000009BEC: D1D3032E 04BB83C0
	v_max3_f32 v46, |v194|, |v195|, v46                        // 000000009BF4: D1D3032E 04BB87C2
	v_max3_f32 v47, |v196|, |v197|, v47                        // 000000009BFC: D1D3032F 04BF8BC4
	v_max3_f32 v47, |v198|, |v199|, v47                        // 000000009C04: D1D3032F 04BF8FC6
	v_mfma_f32_16x16x32_fp8_fp8 v[72:75], a[100:101], v[204:205], v[72:75]// 000000009C0C: D3F30048 0D239964
	v_mfma_f32_16x16x32_fp8_fp8 v[72:75], a[102:103], v[206:207], v[72:75]// 000000009C14: D3F30048 0D239D66
	ds_write_b64 v3, v[46:47]                                  // 000000009C1C: D89A0000 00002E03
	v_mfma_f32_16x16x32_fp8_fp8 v[72:75], a[104:105], v[208:209], v[72:75]// 000000009C24: D3F30048 0D23A168
	buffer_load_dwordx4 a[20:23], v37, s[24:27], 0 offen offset:1024// 000000009C2C: E05C1400 80861425
	v_mfma_f32_16x16x32_fp8_fp8 v[72:75], a[106:107], v[210:211], v[72:75]// 000000009C34: D3F30048 0D23A56A
	s_waitcnt lgkmcnt(0)                                       // 000000009C3C: BF8CC07F
	s_barrier                                                  // 000000009C40: BF8A0000
	v_mfma_f32_16x16x32_fp8_fp8 v[72:75], a[108:109], v[212:213], v[72:75]// 000000009C44: D3F30048 0D23A96C
	v_mfma_f32_16x16x32_fp8_fp8 v[72:75], a[110:111], v[214:215], v[72:75]// 000000009C4C: D3F30048 0D23AD6E
	ds_read_b64 v[46:47], v4                                   // 000000009C54: D8EC0000 2E000004
	ds_read_b64 v[48:49], v4 offset:128                        // 000000009C5C: D8EC0080 30000004
	v_mfma_f32_16x16x32_fp8_fp8 v[76:79], a[96:97], v[216:217], v[76:79]// 000000009C64: D3F3004C 0D33B160
	buffer_load_dwordx4 a[24:27], v37, s[24:27], 0 offen offset:2048// 000000009C6C: E05C1800 80861825
	v_mfma_f32_16x16x32_fp8_fp8 v[76:79], a[98:99], v[218:219], v[76:79]// 000000009C74: D3F3004C 0D33B562
	ds_read_b64 v[50:51], v4 offset:256                        // 000000009C7C: D8EC0100 32000004
	ds_read_b64 v[52:53], v4 offset:384                        // 000000009C84: D8EC0180 34000004
	v_mfma_f32_16x16x32_fp8_fp8 v[76:79], a[100:101], v[220:221], v[76:79]// 000000009C8C: D3F3004C 0D33B964
	v_mfma_f32_16x16x32_fp8_fp8 v[76:79], a[102:103], v[222:223], v[76:79]// 000000009C94: D3F3004C 0D33BD66
	ds_read_b64 v[54:55], v4 offset:512                        // 000000009C9C: D8EC0200 36000004
	ds_read_b64 v[56:57], v4 offset:640                        // 000000009CA4: D8EC0280 38000004
	v_mfma_f32_16x16x32_fp8_fp8 v[76:79], a[104:105], v[224:225], v[76:79]// 000000009CAC: D3F3004C 0D33C168
	buffer_load_dwordx4 a[28:31], v37, s[24:27], 0 offen offset:3072// 000000009CB4: E05C1C00 80861C25
	v_mfma_f32_16x16x32_fp8_fp8 v[76:79], a[106:107], v[226:227], v[76:79]// 000000009CBC: D3F3004C 0D33C56A
	ds_read_b64 v[58:59], v4 offset:768                        // 000000009CC4: D8EC0300 3A000004
	ds_read_b64 v[60:61], v4 offset:896                        // 000000009CCC: D8EC0380 3C000004
	v_mfma_f32_16x16x32_fp8_fp8 v[76:79], a[108:109], v[228:229], v[76:79]// 000000009CD4: D3F3004C 0D33C96C
	v_mfma_f32_16x16x32_fp8_fp8 v[76:79], a[110:111], v[230:231], v[76:79]// 000000009CDC: D3F3004C 0D33CD6E
	s_waitcnt vmcnt(16)                                        // 000000009CE4: BF8C4F70
	v_mfma_f32_16x16x32_fp8_fp8 v[80:83], a[112:113], v[200:201], v[80:83]// 000000009CE8: D3F30050 0D439170
	buffer_load_dwordx4 a[32:35], v38, s[24:27], 0 offen       // 000000009CF0: E05C1000 80862026
	v_mfma_f32_16x16x32_fp8_fp8 v[80:83], a[114:115], v[202:203], v[80:83]// 000000009CF8: D3F30050 0D439572
	s_waitcnt lgkmcnt(0)                                       // 000000009D00: BF8CC07F
	v_mov_b32_e32 v22, 0x358637bd                              // 000000009D04: 7E2C02FF 358637BD
	v_mov_b32_e32 v23, 0x358637bd                              // 000000009D0C: 7E2E02FF 358637BD
	v_max3_f32 v22, |v46|, |v48|, v22                          // 000000009D14: D1D30316 045A612E
	v_max3_f32 v23, |v47|, |v49|, v23                          // 000000009D1C: D1D30317 045E632F
	v_max3_f32 v22, |v50|, |v52|, v22                          // 000000009D24: D1D30316 045A6932
	v_max3_f32 v23, |v51|, |v53|, v23                          // 000000009D2C: D1D30317 045E6B33
	v_max3_f32 v22, |v54|, |v56|, v22                          // 000000009D34: D1D30316 045A7136
	v_max3_f32 v23, |v55|, |v57|, v23                          // 000000009D3C: D1D30317 045E7337
	v_max3_f32 v22, |v58|, |v60|, v22                          // 000000009D44: D1D30316 045A793A
	v_max3_f32 v23, |v59|, |v61|, v23                          // 000000009D4C: D1D30317 045E7B3B
	v_mfma_f32_16x16x32_fp8_fp8 v[80:83], a[116:117], v[204:205], v[80:83]// 000000009D54: D3F30050 0D439974
	v_mfma_f32_16x16x32_fp8_fp8 v[80:83], a[118:119], v[206:207], v[80:83]// 000000009D5C: D3F30050 0D439D76
	ds_read_b64 v[46:47], v4 offset:1024                       // 000000009D64: D8EC0400 2E000004
	ds_read_b64 v[48:49], v4 offset:1152                       // 000000009D6C: D8EC0480 30000004
	v_mfma_f32_16x16x32_fp8_fp8 v[80:83], a[120:121], v[208:209], v[80:83]// 000000009D74: D3F30050 0D43A178
	buffer_load_dwordx4 a[36:39], v38, s[24:27], 0 offen offset:1024// 000000009D7C: E05C1400 80862426
	v_mfma_f32_16x16x32_fp8_fp8 v[80:83], a[122:123], v[210:211], v[80:83]// 000000009D84: D3F30050 0D43A57A
	ds_read_b64 v[50:51], v4 offset:1280                       // 000000009D8C: D8EC0500 32000004
	ds_read_b64 v[52:53], v4 offset:1408                       // 000000009D94: D8EC0580 34000004
	v_mfma_f32_16x16x32_fp8_fp8 v[80:83], a[124:125], v[212:213], v[80:83]// 000000009D9C: D3F30050 0D43A97C
	v_mfma_f32_16x16x32_fp8_fp8 v[80:83], a[126:127], v[214:215], v[80:83]// 000000009DA4: D3F30050 0D43AD7E
	ds_read_b64 v[54:55], v4 offset:1536                       // 000000009DAC: D8EC0600 36000004
	ds_read_b64 v[56:57], v4 offset:1664                       // 000000009DB4: D8EC0680 38000004
	v_mfma_f32_16x16x32_fp8_fp8 v[84:87], a[112:113], v[216:217], v[84:87]// 000000009DBC: D3F30054 0D53B170
	buffer_load_dwordx4 a[40:43], v38, s[24:27], 0 offen offset:2048// 000000009DC4: E05C1800 80862826
	v_mfma_f32_16x16x32_fp8_fp8 v[84:87], a[114:115], v[218:219], v[84:87]// 000000009DCC: D3F30054 0D53B572
	ds_read_b64 v[58:59], v4 offset:1792                       // 000000009DD4: D8EC0700 3A000004
	ds_read_b64 v[60:61], v4 offset:1920                       // 000000009DDC: D8EC0780 3C000004
	v_mfma_f32_16x16x32_fp8_fp8 v[84:87], a[116:117], v[220:221], v[84:87]// 000000009DE4: D3F30054 0D53B974
	v_mfma_f32_16x16x32_fp8_fp8 v[84:87], a[118:119], v[222:223], v[84:87]// 000000009DEC: D3F30054 0D53BD76
	v_mfma_f32_16x16x32_fp8_fp8 v[84:87], a[120:121], v[224:225], v[84:87]// 000000009DF4: D3F30054 0D53C178
	buffer_load_dwordx4 a[44:47], v38, s[24:27], 0 offen offset:3072// 000000009DFC: E05C1C00 80862C26
	v_mfma_f32_16x16x32_fp8_fp8 v[84:87], a[122:123], v[226:227], v[84:87]// 000000009E04: D3F30054 0D53C57A
	s_waitcnt lgkmcnt(0)                                       // 000000009E0C: BF8CC07F
	v_max3_f32 v22, |v46|, |v48|, v22                          // 000000009E10: D1D30316 045A612E
	v_max3_f32 v23, |v47|, |v49|, v23                          // 000000009E18: D1D30317 045E632F
	v_max3_f32 v22, |v50|, |v52|, v22                          // 000000009E20: D1D30316 045A6932
	v_max3_f32 v23, |v51|, |v53|, v23                          // 000000009E28: D1D30317 045E6B33
	v_max3_f32 v22, |v54|, |v56|, v22                          // 000000009E30: D1D30316 045A7136
	v_max3_f32 v23, |v55|, |v57|, v23                          // 000000009E38: D1D30317 045E7337
	v_max3_f32 v22, |v58|, |v60|, v22                          // 000000009E40: D1D30316 045A793A
	v_max3_f32 v23, |v59|, |v61|, v23                          // 000000009E48: D1D30317 045E7B3B
	v_mov_b32_e32 v42, 0x43700000                              // 000000009E50: 7E5402FF 43700000
	v_rcp_f32_e32 v22, v22                                     // 000000009E58: 7E2C4516
	v_rcp_f32_e32 v23, v23                                     // 000000009E5C: 7E2E4517
	s_nop 1                                                    // 000000009E60: BF800001
	v_mul_f32_e32 v22, v42, v22                                // 000000009E64: 0A2C2D2A
	v_mul_f32_e32 v23, v42, v23                                // 000000009E68: 0A2E2F2A
	v_rcp_f32_e32 v24, v22                                     // 000000009E6C: 7E304516
	v_rcp_f32_e32 v25, v23                                     // 000000009E70: 7E324517
	v_mov_b32_e32 v42, v22                                     // 000000009E74: 7E540316
	v_mov_b32_e32 v43, v22                                     // 000000009E78: 7E560316
	v_mov_b32_e32 v44, v23                                     // 000000009E7C: 7E580317
	v_mov_b32_e32 v45, v23                                     // 000000009E80: 7E5A0317
	v_pk_mul_f32 v[168:169], v[42:43], v[168:169]              // 000000009E84: D3B140A8 1803512A
	v_pk_mul_f32 v[170:171], v[42:43], v[170:171]              // 000000009E8C: D3B140AA 1803552A
	v_cvt_pk_fp8_f32 v168, v168, v169                          // 000000009E94: D2A200A8 000353A8
	v_cvt_pk_fp8_f32 v168, v170, v171 op_sel:[0,0,1]           // 000000009E9C: D2A240A8 000357AA
	v_pk_mul_f32 v[172:173], v[44:45], v[172:173]              // 000000009EA4: D3B140AC 1803592C
	v_pk_mul_f32 v[174:175], v[44:45], v[174:175]              // 000000009EAC: D3B140AE 18035D2C
	v_cvt_pk_fp8_f32 v169, v172, v173                          // 000000009EB4: D2A200A9 00035BAC
	v_cvt_pk_fp8_f32 v169, v174, v175 op_sel:[0,0,1]           // 000000009EBC: D2A240A9 00035FAE
	v_pk_mul_f32 v[176:177], v[42:43], v[176:177]              // 000000009EC4: D3B140B0 1803612A
	v_pk_mul_f32 v[178:179], v[42:43], v[178:179]              // 000000009ECC: D3B140B2 1803652A
	v_cvt_pk_fp8_f32 v170, v176, v177                          // 000000009ED4: D2A200AA 000363B0
	v_cvt_pk_fp8_f32 v170, v178, v179 op_sel:[0,0,1]           // 000000009EDC: D2A240AA 000367B2
	v_pk_mul_f32 v[180:181], v[44:45], v[180:181]              // 000000009EE4: D3B140B4 1803692C
	v_pk_mul_f32 v[182:183], v[44:45], v[182:183]              // 000000009EEC: D3B140B6 18036D2C
	v_cvt_pk_fp8_f32 v171, v180, v181                          // 000000009EF4: D2A200AB 00036BB4
	v_cvt_pk_fp8_f32 v171, v182, v183 op_sel:[0,0,1]           // 000000009EFC: D2A240AB 00036FB6
	v_pk_mul_f32 v[184:185], v[42:43], v[184:185]              // 000000009F04: D3B140B8 1803712A
	v_pk_mul_f32 v[186:187], v[42:43], v[186:187]              // 000000009F0C: D3B140BA 1803752A
	v_cvt_pk_fp8_f32 v172, v184, v185                          // 000000009F14: D2A200AC 000373B8
	v_cvt_pk_fp8_f32 v172, v186, v187 op_sel:[0,0,1]           // 000000009F1C: D2A240AC 000377BA
	v_pk_mul_f32 v[188:189], v[44:45], v[188:189]              // 000000009F24: D3B140BC 1803792C
	v_pk_mul_f32 v[190:191], v[44:45], v[190:191]              // 000000009F2C: D3B140BE 18037D2C
	v_cvt_pk_fp8_f32 v173, v188, v189                          // 000000009F34: D2A200AD 00037BBC
	v_cvt_pk_fp8_f32 v173, v190, v191 op_sel:[0,0,1]           // 000000009F3C: D2A240AD 00037FBE
	v_pk_mul_f32 v[192:193], v[42:43], v[192:193]              // 000000009F44: D3B140C0 1803812A
	v_pk_mul_f32 v[194:195], v[42:43], v[194:195]              // 000000009F4C: D3B140C2 1803852A
	v_cvt_pk_fp8_f32 v174, v192, v193                          // 000000009F54: D2A200AE 000383C0
	v_cvt_pk_fp8_f32 v174, v194, v195 op_sel:[0,0,1]           // 000000009F5C: D2A240AE 000387C2
	v_pk_mul_f32 v[196:197], v[44:45], v[196:197]              // 000000009F64: D3B140C4 1803892C
	v_pk_mul_f32 v[198:199], v[44:45], v[198:199]              // 000000009F6C: D3B140C6 18038D2C
	v_cvt_pk_fp8_f32 v175, v196, v197                          // 000000009F74: D2A200AF 00038BC4
	v_cvt_pk_fp8_f32 v175, v198, v199 op_sel:[0,0,1]           // 000000009F7C: D2A240AF 00038FC6
	v_mfma_f32_16x16x32_fp8_fp8 v[84:87], a[124:125], v[228:229], v[84:87]// 000000009F84: D3F30054 0D53C97C
	v_mfma_f32_16x16x32_fp8_fp8 v[84:87], a[126:127], v[230:231], v[84:87]// 000000009F8C: D3F30054 0D53CD7E
	ds_write_b32 v12, v168 offset:2048                         // 000000009F94: D81A0800 0000A80C
	ds_write_b32 v12, v169 offset:6144                         // 000000009F9C: D81A1800 0000A90C
	s_waitcnt vmcnt(16)                                        // 000000009FA4: BF8C4F70
	v_mfma_f32_16x16x32_fp8_fp8 v[88:91], a[128:129], v[200:201], v[88:91]// 000000009FA8: D3F30058 0D639180
	buffer_load_dwordx4 a[48:51], v39, s[24:27], 0 offen       // 000000009FB0: E05C1000 80863027
	v_mfma_f32_16x16x32_fp8_fp8 v[88:91], a[130:131], v[202:203], v[88:91]// 000000009FB8: D3F30058 0D639582
	ds_write_b32 v12, v170 offset:3072                         // 000000009FC0: D81A0C00 0000AA0C
	ds_write_b32 v12, v171 offset:7168                         // 000000009FC8: D81A1C00 0000AB0C
	v_mfma_f32_16x16x32_fp8_fp8 v[88:91], a[132:133], v[204:205], v[88:91]// 000000009FD0: D3F30058 0D639984
	v_mfma_f32_16x16x32_fp8_fp8 v[88:91], a[134:135], v[206:207], v[88:91]// 000000009FD8: D3F30058 0D639D86
	ds_write_b32 v12, v172 offset:4096                         // 000000009FE0: D81A1000 0000AC0C
	ds_write_b32 v12, v173 offset:8192                         // 000000009FE8: D81A2000 0000AD0C
	v_mfma_f32_16x16x32_fp8_fp8 v[88:91], a[136:137], v[208:209], v[88:91]// 000000009FF0: D3F30058 0D63A188
	buffer_load_dwordx4 a[52:55], v39, s[24:27], 0 offen offset:1024// 000000009FF8: E05C1400 80863427
	v_mfma_f32_16x16x32_fp8_fp8 v[88:91], a[138:139], v[210:211], v[88:91]// 00000000A000: D3F30058 0D63A58A
	ds_write_b32 v12, v174 offset:5120                         // 00000000A008: D81A1400 0000AE0C
	ds_write_b32 v12, v175 offset:9216                         // 00000000A010: D81A2400 0000AF0C
	v_mfma_f32_16x16x32_fp8_fp8 v[88:91], a[140:141], v[212:213], v[88:91]// 00000000A018: D3F30058 0D63A98C
	v_mfma_f32_16x16x32_fp8_fp8 v[88:91], a[142:143], v[214:215], v[88:91]// 00000000A020: D3F30058 0D63AD8E
	v_mfma_f32_16x16x32_fp8_fp8 v[92:95], a[128:129], v[216:217], v[92:95]// 00000000A028: D3F3005C 0D73B180
	buffer_load_dwordx4 a[56:59], v39, s[24:27], 0 offen offset:2048// 00000000A030: E05C1800 80863827
	v_mfma_f32_16x16x32_fp8_fp8 v[92:95], a[130:131], v[218:219], v[92:95]// 00000000A038: D3F3005C 0D73B582
	v_mfma_f32_16x16x32_fp8_fp8 v[92:95], a[132:133], v[220:221], v[92:95]// 00000000A040: D3F3005C 0D73B984
	v_mfma_f32_16x16x32_fp8_fp8 v[92:95], a[134:135], v[222:223], v[92:95]// 00000000A048: D3F3005C 0D73BD86
	s_waitcnt lgkmcnt(0)                                       // 00000000A050: BF8CC07F
	s_barrier                                                  // 00000000A054: BF8A0000
	v_mfma_f32_16x16x32_fp8_fp8 v[92:95], a[136:137], v[224:225], v[92:95]// 00000000A058: D3F3005C 0D73C188
	buffer_load_dwordx4 a[60:63], v39, s[24:27], 0 offen offset:3072// 00000000A060: E05C1C00 80863C27
	v_mfma_f32_16x16x32_fp8_fp8 v[92:95], a[138:139], v[226:227], v[92:95]// 00000000A068: D3F3005C 0D73C58A
	ds_read_b64 v[168:169], v13 offset:2048                    // 00000000A070: D8EC0800 A800000D
	ds_read_b64 v[170:171], v13 offset:2176                    // 00000000A078: D8EC0880 AA00000D
	v_mfma_f32_16x16x32_fp8_fp8 v[92:95], a[140:141], v[228:229], v[92:95]// 00000000A080: D3F3005C 0D73C98C
	v_mfma_f32_16x16x32_fp8_fp8 v[92:95], a[142:143], v[230:231], v[92:95]// 00000000A088: D3F3005C 0D73CD8E
	ds_read_b64 v[172:173], v13 offset:3072                    // 00000000A090: D8EC0C00 AC00000D
	ds_read_b64 v[174:175], v13 offset:3200                    // 00000000A098: D8EC0C80 AE00000D
	s_waitcnt vmcnt(16)                                        // 00000000A0A0: BF8C4F70
	v_mfma_f32_16x16x32_fp8_fp8 v[96:99], a[144:145], v[200:201], v[96:99]// 00000000A0A4: D3F30060 0D839190
	buffer_load_dwordx4 a[64:67], v40, s[24:27], 0 offen       // 00000000A0AC: E05C1000 80864028
	v_mfma_f32_16x16x32_fp8_fp8 v[96:99], a[146:147], v[202:203], v[96:99]// 00000000A0B4: D3F30060 0D839592
	ds_read_b64 v[176:177], v13 offset:4096                    // 00000000A0BC: D8EC1000 B000000D
	ds_read_b64 v[178:179], v13 offset:4224                    // 00000000A0C4: D8EC1080 B200000D
	v_mfma_f32_16x16x32_fp8_fp8 v[96:99], a[148:149], v[204:205], v[96:99]// 00000000A0CC: D3F30060 0D839994
	v_mfma_f32_16x16x32_fp8_fp8 v[96:99], a[150:151], v[206:207], v[96:99]// 00000000A0D4: D3F30060 0D839D96
	ds_read_b64 v[180:181], v13 offset:5120                    // 00000000A0DC: D8EC1400 B400000D
	ds_read_b64 v[182:183], v13 offset:5248                    // 00000000A0E4: D8EC1480 B600000D
	v_mfma_f32_16x16x32_fp8_fp8 v[96:99], a[152:153], v[208:209], v[96:99]// 00000000A0EC: D3F30060 0D83A198
	buffer_load_dwordx4 a[68:71], v40, s[24:27], 0 offen offset:1024// 00000000A0F4: E05C1400 80864428
	v_mfma_f32_16x16x32_fp8_fp8 v[96:99], a[154:155], v[210:211], v[96:99]// 00000000A0FC: D3F30060 0D83A59A
	ds_read_b64 v[184:185], v13 offset:6144                    // 00000000A104: D8EC1800 B800000D
	ds_read_b64 v[186:187], v13 offset:6272                    // 00000000A10C: D8EC1880 BA00000D
	v_mfma_f32_16x16x32_fp8_fp8 v[96:99], a[156:157], v[212:213], v[96:99]// 00000000A114: D3F30060 0D83A99C
	v_mfma_f32_16x16x32_fp8_fp8 v[96:99], a[158:159], v[214:215], v[96:99]// 00000000A11C: D3F30060 0D83AD9E
	ds_read_b64 v[188:189], v13 offset:7168                    // 00000000A124: D8EC1C00 BC00000D
	ds_read_b64 v[190:191], v13 offset:7296                    // 00000000A12C: D8EC1C80 BE00000D
	v_mfma_f32_16x16x32_fp8_fp8 v[100:103], a[144:145], v[216:217], v[100:103]// 00000000A134: D3F30064 0D93B190
	buffer_load_dwordx4 a[72:75], v40, s[24:27], 0 offen offset:2048// 00000000A13C: E05C1800 80864828
	v_mfma_f32_16x16x32_fp8_fp8 v[100:103], a[146:147], v[218:219], v[100:103]// 00000000A144: D3F30064 0D93B592
	ds_read_b64 v[192:193], v13 offset:8192                    // 00000000A14C: D8EC2000 C000000D
	ds_read_b64 v[194:195], v13 offset:8320                    // 00000000A154: D8EC2080 C200000D
	v_mfma_f32_16x16x32_fp8_fp8 v[100:103], a[148:149], v[220:221], v[100:103]// 00000000A15C: D3F30064 0D93B994
	v_mfma_f32_16x16x32_fp8_fp8 v[100:103], a[150:151], v[222:223], v[100:103]// 00000000A164: D3F30064 0D93BD96
	ds_read_b64 v[196:197], v13 offset:9216                    // 00000000A16C: D8EC2400 C400000D
	ds_read_b64 v[198:199], v13 offset:9344                    // 00000000A174: D8EC2480 C600000D
	v_mfma_f32_16x16x32_fp8_fp8 v[100:103], a[152:153], v[224:225], v[100:103]// 00000000A17C: D3F30064 0D93C198
	buffer_load_dwordx4 a[76:79], v40, s[24:27], 0 offen offset:3072// 00000000A184: E05C1C00 80864C28
	v_mfma_f32_16x16x32_fp8_fp8 v[100:103], a[154:155], v[226:227], v[100:103]// 00000000A18C: D3F30064 0D93C59A
	v_mfma_f32_16x16x32_fp8_fp8 v[100:103], a[156:157], v[228:229], v[100:103]// 00000000A194: D3F30064 0D93C99C
	v_mfma_f32_16x16x32_fp8_fp8 v[100:103], a[158:159], v[230:231], v[100:103]// 00000000A19C: D3F30064 0D93CD9E
	s_add_u32 s60, 0x200, s80                                  // 00000000A1A4: 803C50FF 00000200
	s_cmp_lt_u32 s60, s81                                      // 00000000A1AC: BF0A513C
	s_cselect_b32 s57, s57, 0                                  // 00000000A1B0: 85398039
	s_cselect_b32 s91, s91, 0                                  // 00000000A1B4: 855B805B
	s_add_u32 s60, 0x200, s80                                  // 00000000A1B8: 803C50FF 00000200
	s_cmp_lt_u32 s60, s81                                      // 00000000A1C0: BF0A513C
	s_cselect_b32 s58, s58, 0                                  // 00000000A1C4: 853A803A
	s_add_u32 s20, s57, s20                                    // 00000000A1C8: 80141439
	s_addc_u32 s21, 0, s21                                     // 00000000A1CC: 82151580
	s_add_u32 s28, s91, s28                                    // 00000000A1D0: 801C1C5B
	s_addc_u32 s29, 0, s29                                     // 00000000A1D4: 821D1D80
	s_add_u32 s24, s58, s24                                    // 00000000A1D8: 8018183A
	s_addc_u32 s25, 0, s25                                     // 00000000A1DC: 82191980
	s_add_u32 s92, s90, s92                                    // 00000000A1E0: 805C5C5A
	s_addc_u32 s93, 0, s93                                     // 00000000A1E4: 825D5D80
	v_mov_b32_e32 v42, v26                                     // 00000000A1E8: 7E54031A
	v_mov_b32_e32 v44, v27                                     // 00000000A1EC: 7E58031B
	v_mov_b32_e32 v43, v42                                     // 00000000A1F0: 7E56032A
	v_mov_b32_e32 v45, v44                                     // 00000000A1F4: 7E5A032C
	v_pk_mul_f32 v[64:65], v[42:43], v[64:65]                  // 00000000A1F8: D3B14040 1802812A
	v_pk_mul_f32 v[66:67], v[42:43], v[66:67]                  // 00000000A200: D3B14042 1802852A
	v_pk_mul_f32 v[68:69], v[44:45], v[68:69]                  // 00000000A208: D3B14044 1802892C
	v_pk_mul_f32 v[70:71], v[44:45], v[70:71]                  // 00000000A210: D3B14046 18028D2C
	v_pk_mul_f32 v[72:73], v[42:43], v[72:73]                  // 00000000A218: D3B14048 1802912A
	v_pk_mul_f32 v[74:75], v[42:43], v[74:75]                  // 00000000A220: D3B1404A 1802952A
	v_pk_mul_f32 v[76:77], v[44:45], v[76:77]                  // 00000000A228: D3B1404C 1802992C
	v_pk_mul_f32 v[78:79], v[44:45], v[78:79]                  // 00000000A230: D3B1404E 18029D2C
	v_pk_mul_f32 v[80:81], v[42:43], v[80:81]                  // 00000000A238: D3B14050 1802A12A
	v_pk_mul_f32 v[82:83], v[42:43], v[82:83]                  // 00000000A240: D3B14052 1802A52A
	v_pk_mul_f32 v[84:85], v[44:45], v[84:85]                  // 00000000A248: D3B14054 1802A92C
	v_pk_mul_f32 v[86:87], v[44:45], v[86:87]                  // 00000000A250: D3B14056 1802AD2C
	v_pk_mul_f32 v[88:89], v[42:43], v[88:89]                  // 00000000A258: D3B14058 1802B12A
	v_pk_mul_f32 v[90:91], v[42:43], v[90:91]                  // 00000000A260: D3B1405A 1802B52A
	v_pk_mul_f32 v[92:93], v[44:45], v[92:93]                  // 00000000A268: D3B1405C 1802B92C
	v_pk_mul_f32 v[94:95], v[44:45], v[94:95]                  // 00000000A270: D3B1405E 1802BD2C
	v_pk_mul_f32 v[96:97], v[42:43], v[96:97]                  // 00000000A278: D3B14060 1802C12A
	v_pk_mul_f32 v[98:99], v[42:43], v[98:99]                  // 00000000A280: D3B14062 1802C52A
	v_pk_mul_f32 v[100:101], v[44:45], v[100:101]              // 00000000A288: D3B14064 1802C92C
	v_pk_mul_f32 v[102:103], v[44:45], v[102:103]              // 00000000A290: D3B14066 1802CD2C
	s_addk_i32 s80, 0x100                                      // 00000000A298: B7500100
	s_cmp_lt_i32 s80, s81                                      // 00000000A29C: BF045150
	s_cbranch_scc0 label_1D2A                                  // 00000000A2A0: BF840001
	s_branch label_152D                                        // 00000000A2A4: BF82F803

000000000000a2a8 <label_1D2A>:
	s_mov_b32 s36, -1                                          // 00000000A2A8: BEA400C1
	s_mov_b32 s37, -1                                          // 00000000A2AC: BEA500C1
	s_mov_b64 s[60:61], 0                                      // 00000000A2B0: BEBC0180
	s_cmp_lt_u32 s82, s66                                      // 00000000A2B4: BF0A4252
	s_cselect_b64 s[20:21], s[36:37], s[60:61]                 // 00000000A2B8: 85943C24
	s_cmp_lt_u32 s83, s66                                      // 00000000A2BC: BF0A4253
	s_cselect_b64 s[22:23], s[36:37], s[60:61]                 // 00000000A2C0: 85963C24
	s_cmp_lt_u32 s84, s66                                      // 00000000A2C4: BF0A4254
	s_cselect_b64 s[24:25], s[36:37], s[60:61]                 // 00000000A2C8: 85983C24
	s_cmp_lt_u32 s85, s66                                      // 00000000A2CC: BF0A4255
	s_cselect_b64 s[26:27], s[36:37], s[60:61]                 // 00000000A2D0: 859A3C24
	s_cmp_lt_u32 s86, s66                                      // 00000000A2D4: BF0A4256
	s_cselect_b64 s[28:29], s[36:37], s[60:61]                 // 00000000A2D8: 859C3C24
	s_cmp_lt_u32 s87, s66                                      // 00000000A2DC: BF0A4257
	s_cselect_b64 s[30:31], s[36:37], s[60:61]                 // 00000000A2E0: 859E3C24
	s_cmp_lt_u32 s88, s66                                      // 00000000A2E4: BF0A4258
	s_cselect_b64 s[32:33], s[36:37], s[60:61]                 // 00000000A2E8: 85A03C24
	s_cmp_lt_u32 s89, s66                                      // 00000000A2EC: BF0A4259
	s_cselect_b64 s[34:35], s[36:37], s[60:61]                 // 00000000A2F0: 85A23C24
	v_mov_b32_e32 v54, 0xbfcc4231                              // 00000000A2F4: 7E6C02FF BFCC4231
	v_mov_b32_e32 v55, 0xbfcc4231                              // 00000000A2FC: 7E6E02FF BFCC4231
	v_mov_b32_e32 v51, 0xffff0000                              // 00000000A304: 7E6602FF FFFF0000
	v_mov_b32_e32 v52, 0x7fff0000                              // 00000000A30C: 7E6802FF 7FFF0000
	v_mov_b32_e32 v53, 0x7fff                                  // 00000000A314: 7E6A02FF 00007FFF
	s_mul_i32 s60, s5, 16                                      // 00000000A31C: 923C9005
	s_mul_i32 s60, s60, s70                                    // 00000000A320: 923C463C
	v_lshlrev_b32_e32 v46, 4, v0                               // 00000000A324: 245C0084
	v_add_u32_e32 v46, s60, v46                                // 00000000A328: 685C5C3C
	s_mul_i32 s60, 64, s70                                     // 00000000A32C: 923C46C0
	v_add_u32_e32 v47, s60, v46                                // 00000000A330: 685E5C3C
	v_add_u32_e32 v48, s60, v47                                // 00000000A334: 68605E3C
	v_add_u32_e32 v49, s60, v48                                // 00000000A338: 6862603C
	v_lshrrev_b32_e32 v42, 4, v0                               // 00000000A33C: 20540084
	v_mul_i32_i24_e32 v3, 34, v42                              // 00000000A340: 0C0654A2
	v_and_b32_e32 v42, 15, v0                                  // 00000000A344: 2654008F
	v_mul_i32_i24_e32 v43, 2, v42                              // 00000000A348: 0C565482
	v_add_u32_e32 v3, v43, v3                                  // 00000000A34C: 6806072B
	s_mul_i32 s60, s5, 0x88                                    // 00000000A350: 923CFF05 00000088
	v_add_u32_e32 v3, s60, v3                                  // 00000000A358: 6806063C
	v_lshlrev_b32_e32 v3, 2, v3                                // 00000000A35C: 24060682
	v_lshrrev_b32_e32 v42, 1, v0                               // 00000000A360: 20540081
	v_mul_i32_i24_e32 v4, 34, v42                              // 00000000A364: 0C0854A2
	v_and_b32_e32 v43, 1, v0                                   // 00000000A368: 26560081
	v_add_u32_e32 v4, v43, v4                                  // 00000000A36C: 6808092B
	s_mul_i32 s60, s5, 2                                       // 00000000A370: 923C8205
	v_add_u32_e32 v4, s60, v4                                  // 00000000A374: 6808083C
	v_lshlrev_b32_e32 v4, 2, v4                                // 00000000A378: 24080882
	v_mul_f32_dpp v128, v16, v128 row_newbcast:0 row_mask:0xf bank_mask:0xf// 00000000A37C: 0B0100FA FF015010
	v_mul_f32_dpp v129, v16, v129 row_newbcast:1 row_mask:0xf bank_mask:0xf// 00000000A384: 0B0302FA FF015110
	v_mul_f32_dpp v130, v16, v130 row_newbcast:2 row_mask:0xf bank_mask:0xf// 00000000A38C: 0B0504FA FF015210
	v_mul_f32_dpp v131, v16, v131 row_newbcast:3 row_mask:0xf bank_mask:0xf// 00000000A394: 0B0706FA FF015310
	v_mul_f32_dpp v132, v16, v132 row_newbcast:0 row_mask:0xf bank_mask:0xf// 00000000A39C: 0B0908FA FF015010
	v_mul_f32_dpp v133, v16, v133 row_newbcast:1 row_mask:0xf bank_mask:0xf// 00000000A3A4: 0B0B0AFA FF015110
	v_mul_f32_dpp v134, v16, v134 row_newbcast:2 row_mask:0xf bank_mask:0xf// 00000000A3AC: 0B0D0CFA FF015210
	v_mul_f32_dpp v135, v16, v135 row_newbcast:3 row_mask:0xf bank_mask:0xf// 00000000A3B4: 0B0F0EFA FF015310
	v_mul_f32_dpp v136, v16, v136 row_newbcast:4 row_mask:0xf bank_mask:0xf// 00000000A3BC: 0B1110FA FF015410
	v_mul_f32_dpp v137, v16, v137 row_newbcast:5 row_mask:0xf bank_mask:0xf// 00000000A3C4: 0B1312FA FF015510
	v_mul_f32_dpp v138, v16, v138 row_newbcast:6 row_mask:0xf bank_mask:0xf// 00000000A3CC: 0B1514FA FF015610
	v_mul_f32_dpp v139, v16, v139 row_newbcast:7 row_mask:0xf bank_mask:0xf// 00000000A3D4: 0B1716FA FF015710
	v_mul_f32_dpp v140, v16, v140 row_newbcast:4 row_mask:0xf bank_mask:0xf// 00000000A3DC: 0B1918FA FF015410
	v_mul_f32_dpp v141, v16, v141 row_newbcast:5 row_mask:0xf bank_mask:0xf// 00000000A3E4: 0B1B1AFA FF015510
	v_mul_f32_dpp v142, v16, v142 row_newbcast:6 row_mask:0xf bank_mask:0xf// 00000000A3EC: 0B1D1CFA FF015610
	v_mul_f32_dpp v143, v16, v143 row_newbcast:7 row_mask:0xf bank_mask:0xf// 00000000A3F4: 0B1F1EFA FF015710
	v_mul_f32_dpp v144, v16, v144 row_newbcast:8 row_mask:0xf bank_mask:0xf// 00000000A3FC: 0B2120FA FF015810
	v_mul_f32_dpp v145, v16, v145 row_newbcast:9 row_mask:0xf bank_mask:0xf// 00000000A404: 0B2322FA FF015910
	v_mul_f32_dpp v146, v16, v146 row_newbcast:10 row_mask:0xf bank_mask:0xf// 00000000A40C: 0B2524FA FF015A10
	v_mul_f32_dpp v147, v16, v147 row_newbcast:11 row_mask:0xf bank_mask:0xf// 00000000A414: 0B2726FA FF015B10
	v_mul_f32_dpp v148, v16, v148 row_newbcast:8 row_mask:0xf bank_mask:0xf// 00000000A41C: 0B2928FA FF015810
	v_mul_f32_dpp v149, v16, v149 row_newbcast:9 row_mask:0xf bank_mask:0xf// 00000000A424: 0B2B2AFA FF015910
	v_mul_f32_dpp v150, v16, v150 row_newbcast:10 row_mask:0xf bank_mask:0xf// 00000000A42C: 0B2D2CFA FF015A10
	v_mul_f32_dpp v151, v16, v151 row_newbcast:11 row_mask:0xf bank_mask:0xf// 00000000A434: 0B2F2EFA FF015B10
	v_mul_f32_dpp v152, v16, v152 row_newbcast:12 row_mask:0xf bank_mask:0xf// 00000000A43C: 0B3130FA FF015C10
	v_mul_f32_dpp v153, v16, v153 row_newbcast:13 row_mask:0xf bank_mask:0xf// 00000000A444: 0B3332FA FF015D10
	v_mul_f32_dpp v154, v16, v154 row_newbcast:14 row_mask:0xf bank_mask:0xf// 00000000A44C: 0B3534FA FF015E10
	v_mul_f32_dpp v155, v16, v155 row_newbcast:15 row_mask:0xf bank_mask:0xf// 00000000A454: 0B3736FA FF015F10
	v_mul_f32_dpp v156, v16, v156 row_newbcast:12 row_mask:0xf bank_mask:0xf// 00000000A45C: 0B3938FA FF015C10
	v_mul_f32_dpp v157, v16, v157 row_newbcast:13 row_mask:0xf bank_mask:0xf// 00000000A464: 0B3B3AFA FF015D10
	v_mul_f32_dpp v158, v16, v158 row_newbcast:14 row_mask:0xf bank_mask:0xf// 00000000A46C: 0B3D3CFA FF015E10
	v_mul_f32_dpp v159, v16, v159 row_newbcast:15 row_mask:0xf bank_mask:0xf// 00000000A474: 0B3F3EFA FF015F10
	v_mul_f32_dpp v160, v17, v160 row_newbcast:0 row_mask:0xf bank_mask:0xf// 00000000A47C: 0B4140FA FF015011
	v_mul_f32_dpp v161, v17, v161 row_newbcast:1 row_mask:0xf bank_mask:0xf// 00000000A484: 0B4342FA FF015111
	v_mul_f32_dpp v162, v17, v162 row_newbcast:2 row_mask:0xf bank_mask:0xf// 00000000A48C: 0B4544FA FF015211
	v_mul_f32_dpp v163, v17, v163 row_newbcast:3 row_mask:0xf bank_mask:0xf// 00000000A494: 0B4746FA FF015311
	v_mul_f32_dpp v164, v17, v164 row_newbcast:0 row_mask:0xf bank_mask:0xf// 00000000A49C: 0B4948FA FF015011
	v_mul_f32_dpp v165, v17, v165 row_newbcast:1 row_mask:0xf bank_mask:0xf// 00000000A4A4: 0B4B4AFA FF015111
	v_mul_f32_dpp v166, v17, v166 row_newbcast:2 row_mask:0xf bank_mask:0xf// 00000000A4AC: 0B4D4CFA FF015211
	v_mul_f32_dpp v167, v17, v167 row_newbcast:3 row_mask:0xf bank_mask:0xf// 00000000A4B4: 0B4F4EFA FF015311
	v_mul_f32_dpp v64, v8, v64 row_newbcast:0 row_mask:0xf bank_mask:0xf// 00000000A4BC: 0A8080FA FF015008
	v_mul_f32_dpp v65, v8, v65 row_newbcast:1 row_mask:0xf bank_mask:0xf// 00000000A4C4: 0A8282FA FF015108
	v_mul_f32_dpp v66, v8, v66 row_newbcast:2 row_mask:0xf bank_mask:0xf// 00000000A4CC: 0A8484FA FF015208
	v_mul_f32_dpp v67, v8, v67 row_newbcast:3 row_mask:0xf bank_mask:0xf// 00000000A4D4: 0A8686FA FF015308
	v_mul_f32_dpp v68, v8, v68 row_newbcast:0 row_mask:0xf bank_mask:0xf// 00000000A4DC: 0A8888FA FF015008
	v_mul_f32_dpp v69, v8, v69 row_newbcast:1 row_mask:0xf bank_mask:0xf// 00000000A4E4: 0A8A8AFA FF015108
	v_mul_f32_dpp v70, v8, v70 row_newbcast:2 row_mask:0xf bank_mask:0xf// 00000000A4EC: 0A8C8CFA FF015208
	v_mul_f32_dpp v71, v8, v71 row_newbcast:3 row_mask:0xf bank_mask:0xf// 00000000A4F4: 0A8E8EFA FF015308
	v_mul_f32_dpp v72, v8, v72 row_newbcast:4 row_mask:0xf bank_mask:0xf// 00000000A4FC: 0A9090FA FF015408
	v_mul_f32_dpp v73, v8, v73 row_newbcast:5 row_mask:0xf bank_mask:0xf// 00000000A504: 0A9292FA FF015508
	v_mul_f32_dpp v74, v8, v74 row_newbcast:6 row_mask:0xf bank_mask:0xf// 00000000A50C: 0A9494FA FF015608
	v_mul_f32_dpp v75, v8, v75 row_newbcast:7 row_mask:0xf bank_mask:0xf// 00000000A514: 0A9696FA FF015708
	v_mul_f32_dpp v76, v8, v76 row_newbcast:4 row_mask:0xf bank_mask:0xf// 00000000A51C: 0A9898FA FF015408
	v_mul_f32_dpp v77, v8, v77 row_newbcast:5 row_mask:0xf bank_mask:0xf// 00000000A524: 0A9A9AFA FF015508
	v_mul_f32_dpp v78, v8, v78 row_newbcast:6 row_mask:0xf bank_mask:0xf// 00000000A52C: 0A9C9CFA FF015608
	v_mul_f32_dpp v79, v8, v79 row_newbcast:7 row_mask:0xf bank_mask:0xf// 00000000A534: 0A9E9EFA FF015708
	v_mul_f32_dpp v80, v8, v80 row_newbcast:8 row_mask:0xf bank_mask:0xf// 00000000A53C: 0AA0A0FA FF015808
	v_mul_f32_dpp v81, v8, v81 row_newbcast:9 row_mask:0xf bank_mask:0xf// 00000000A544: 0AA2A2FA FF015908
	v_mul_f32_dpp v82, v8, v82 row_newbcast:10 row_mask:0xf bank_mask:0xf// 00000000A54C: 0AA4A4FA FF015A08
	v_mul_f32_dpp v83, v8, v83 row_newbcast:11 row_mask:0xf bank_mask:0xf// 00000000A554: 0AA6A6FA FF015B08
	v_mul_f32_dpp v84, v8, v84 row_newbcast:8 row_mask:0xf bank_mask:0xf// 00000000A55C: 0AA8A8FA FF015808
	v_mul_f32_dpp v85, v8, v85 row_newbcast:9 row_mask:0xf bank_mask:0xf// 00000000A564: 0AAAAAFA FF015908
	v_mul_f32_dpp v86, v8, v86 row_newbcast:10 row_mask:0xf bank_mask:0xf// 00000000A56C: 0AACACFA FF015A08
	v_mul_f32_dpp v87, v8, v87 row_newbcast:11 row_mask:0xf bank_mask:0xf// 00000000A574: 0AAEAEFA FF015B08
	v_mul_f32_dpp v88, v8, v88 row_newbcast:12 row_mask:0xf bank_mask:0xf// 00000000A57C: 0AB0B0FA FF015C08
	v_mul_f32_dpp v89, v8, v89 row_newbcast:13 row_mask:0xf bank_mask:0xf// 00000000A584: 0AB2B2FA FF015D08
	v_mul_f32_dpp v90, v8, v90 row_newbcast:14 row_mask:0xf bank_mask:0xf// 00000000A58C: 0AB4B4FA FF015E08
	v_mul_f32_dpp v91, v8, v91 row_newbcast:15 row_mask:0xf bank_mask:0xf// 00000000A594: 0AB6B6FA FF015F08
	v_mul_f32_dpp v92, v8, v92 row_newbcast:12 row_mask:0xf bank_mask:0xf// 00000000A59C: 0AB8B8FA FF015C08
	v_mul_f32_dpp v93, v8, v93 row_newbcast:13 row_mask:0xf bank_mask:0xf// 00000000A5A4: 0ABABAFA FF015D08
	v_mul_f32_dpp v94, v8, v94 row_newbcast:14 row_mask:0xf bank_mask:0xf// 00000000A5AC: 0ABCBCFA FF015E08
	v_mul_f32_dpp v95, v8, v95 row_newbcast:15 row_mask:0xf bank_mask:0xf// 00000000A5B4: 0ABEBEFA FF015F08
	v_mul_f32_dpp v96, v9, v96 row_newbcast:0 row_mask:0xf bank_mask:0xf// 00000000A5BC: 0AC0C0FA FF015009
	v_mul_f32_dpp v97, v9, v97 row_newbcast:1 row_mask:0xf bank_mask:0xf// 00000000A5C4: 0AC2C2FA FF015109
	v_mul_f32_dpp v98, v9, v98 row_newbcast:2 row_mask:0xf bank_mask:0xf// 00000000A5CC: 0AC4C4FA FF015209
	v_mul_f32_dpp v99, v9, v99 row_newbcast:3 row_mask:0xf bank_mask:0xf// 00000000A5D4: 0AC6C6FA FF015309
	v_mul_f32_dpp v100, v9, v100 row_newbcast:0 row_mask:0xf bank_mask:0xf// 00000000A5DC: 0AC8C8FA FF015009
	v_mul_f32_dpp v101, v9, v101 row_newbcast:1 row_mask:0xf bank_mask:0xf// 00000000A5E4: 0ACACAFA FF015109
	v_mul_f32_dpp v102, v9, v102 row_newbcast:2 row_mask:0xf bank_mask:0xf// 00000000A5EC: 0ACCCCFA FF015209
	v_mul_f32_dpp v103, v9, v103 row_newbcast:3 row_mask:0xf bank_mask:0xf// 00000000A5F4: 0ACECEFA FF015309
	s_waitcnt vmcnt(16)                                        // 00000000A5FC: BF8C4F70
	buffer_load_dwordx4 a[0:3], v46, s[12:15], 0 offen         // 00000000A600: E05C1000 8083002E
	v_mul_f32_e64 v42, -v128, s6                               // 00000000A608: D105002A 20000D80
	v_mul_f32_e64 v43, -v129, s6                               // 00000000A610: D105002B 20000D81
	v_mul_f32_e64 v44, -v130, s6                               // 00000000A618: D105002C 20000D82
	v_mul_f32_e64 v45, -v131, s6                               // 00000000A620: D105002D 20000D83
	v_exp_f32_e32 v42, v42                                     // 00000000A628: 7E54412A
	v_exp_f32_e32 v43, v43                                     // 00000000A62C: 7E56412B
	v_exp_f32_e32 v44, v44                                     // 00000000A630: 7E58412C
	v_exp_f32_e32 v45, v45                                     // 00000000A634: 7E5A412D
	buffer_load_dwordx4 a[4:7], v47, s[12:15], 0 offen         // 00000000A638: E05C1000 8083042F
	v_add_f32_e64 v42, v42, 1.0                                // 00000000A640: D101002A 0001E52A
	v_add_f32_e64 v43, v43, 1.0                                // 00000000A648: D101002B 0001E52B
	v_add_f32_e64 v44, v44, 1.0                                // 00000000A650: D101002C 0001E52C
	v_add_f32_e64 v45, v45, 1.0                                // 00000000A658: D101002D 0001E52D
	v_rcp_f32_e32 v42, v42                                     // 00000000A660: 7E54452A
	v_rcp_f32_e32 v43, v43                                     // 00000000A664: 7E56452B
	v_rcp_f32_e32 v44, v44                                     // 00000000A668: 7E58452C
	v_rcp_f32_e32 v45, v45                                     // 00000000A66C: 7E5A452D
	v_pk_mul_f32 v[128:129], v[128:129], v[42:43]              // 00000000A670: D3B14080 18025580
	v_pk_mul_f32 v[130:131], v[130:131], v[44:45]              // 00000000A678: D3B14082 18025982
	v_pk_mul_f32 v[128:129], v[128:129], v[64:65]              // 00000000A680: D3B14080 18028180
	v_pk_mul_f32 v[130:131], v[130:131], v[66:67]              // 00000000A688: D3B14082 18028582
	buffer_load_dwordx4 a[8:11], v48, s[12:15], 0 offen        // 00000000A690: E05C1000 80830830
	v_mul_f32_e64 v42, -v132, s6                               // 00000000A698: D105002A 20000D84
	v_mul_f32_e64 v43, -v133, s6                               // 00000000A6A0: D105002B 20000D85
	v_mul_f32_e64 v44, -v134, s6                               // 00000000A6A8: D105002C 20000D86
	v_mul_f32_e64 v45, -v135, s6                               // 00000000A6B0: D105002D 20000D87
	v_exp_f32_e32 v42, v42                                     // 00000000A6B8: 7E54412A
	v_exp_f32_e32 v43, v43                                     // 00000000A6BC: 7E56412B
	v_exp_f32_e32 v44, v44                                     // 00000000A6C0: 7E58412C
	v_exp_f32_e32 v45, v45                                     // 00000000A6C4: 7E5A412D
	buffer_load_dwordx4 a[12:15], v49, s[12:15], 0 offen       // 00000000A6C8: E05C1000 80830C31
	s_add_u32 s12, s78, s12                                    // 00000000A6D0: 800C0C4E
	s_addc_u32 s13, 0, s13                                     // 00000000A6D4: 820D0D80
	v_add_f32_e64 v42, v42, 1.0                                // 00000000A6D8: D101002A 0001E52A
	v_add_f32_e64 v43, v43, 1.0                                // 00000000A6E0: D101002B 0001E52B
	v_add_f32_e64 v44, v44, 1.0                                // 00000000A6E8: D101002C 0001E52C
	v_add_f32_e64 v45, v45, 1.0                                // 00000000A6F0: D101002D 0001E52D
	v_rcp_f32_e32 v42, v42                                     // 00000000A6F8: 7E54452A
	v_rcp_f32_e32 v43, v43                                     // 00000000A6FC: 7E56452B
	v_rcp_f32_e32 v44, v44                                     // 00000000A700: 7E58452C
	v_rcp_f32_e32 v45, v45                                     // 00000000A704: 7E5A452D
	v_pk_mul_f32 v[132:133], v[132:133], v[42:43]              // 00000000A708: D3B14084 18025584
	v_pk_mul_f32 v[134:135], v[134:135], v[44:45]              // 00000000A710: D3B14086 18025986
	v_pk_mul_f32 v[132:133], v[132:133], v[68:69]              // 00000000A718: D3B14084 18028984
	v_pk_mul_f32 v[134:135], v[134:135], v[70:71]              // 00000000A720: D3B14086 18028D86
	s_waitcnt vmcnt(16)                                        // 00000000A728: BF8C4F70
	buffer_load_dwordx4 a[16:19], v46, s[12:15], 0 offen       // 00000000A72C: E05C1000 8083102E
	v_mul_f32_e64 v42, -v136, s6                               // 00000000A734: D105002A 20000D88
	v_mul_f32_e64 v43, -v137, s6                               // 00000000A73C: D105002B 20000D89
	v_mul_f32_e64 v44, -v138, s6                               // 00000000A744: D105002C 20000D8A
	v_mul_f32_e64 v45, -v139, s6                               // 00000000A74C: D105002D 20000D8B
	v_exp_f32_e32 v42, v42                                     // 00000000A754: 7E54412A
	v_exp_f32_e32 v43, v43                                     // 00000000A758: 7E56412B
	v_exp_f32_e32 v44, v44                                     // 00000000A75C: 7E58412C
	v_exp_f32_e32 v45, v45                                     // 00000000A760: 7E5A412D
	buffer_load_dwordx4 a[20:23], v47, s[12:15], 0 offen       // 00000000A764: E05C1000 8083142F
	v_add_f32_e64 v42, v42, 1.0                                // 00000000A76C: D101002A 0001E52A
	v_add_f32_e64 v43, v43, 1.0                                // 00000000A774: D101002B 0001E52B
	v_add_f32_e64 v44, v44, 1.0                                // 00000000A77C: D101002C 0001E52C
	v_add_f32_e64 v45, v45, 1.0                                // 00000000A784: D101002D 0001E52D
	v_rcp_f32_e32 v42, v42                                     // 00000000A78C: 7E54452A
	v_rcp_f32_e32 v43, v43                                     // 00000000A790: 7E56452B
	v_rcp_f32_e32 v44, v44                                     // 00000000A794: 7E58452C
	v_rcp_f32_e32 v45, v45                                     // 00000000A798: 7E5A452D
	v_pk_mul_f32 v[136:137], v[136:137], v[42:43]              // 00000000A79C: D3B14088 18025588
	v_pk_mul_f32 v[138:139], v[138:139], v[44:45]              // 00000000A7A4: D3B1408A 1802598A
	v_pk_mul_f32 v[136:137], v[136:137], v[72:73]              // 00000000A7AC: D3B14088 18029188
	v_pk_mul_f32 v[138:139], v[138:139], v[74:75]              // 00000000A7B4: D3B1408A 1802958A
	buffer_load_dwordx4 a[24:27], v48, s[12:15], 0 offen       // 00000000A7BC: E05C1000 80831830
	v_mul_f32_e64 v42, -v140, s6                               // 00000000A7C4: D105002A 20000D8C
	v_mul_f32_e64 v43, -v141, s6                               // 00000000A7CC: D105002B 20000D8D
	v_mul_f32_e64 v44, -v142, s6                               // 00000000A7D4: D105002C 20000D8E
	v_mul_f32_e64 v45, -v143, s6                               // 00000000A7DC: D105002D 20000D8F
	v_exp_f32_e32 v42, v42                                     // 00000000A7E4: 7E54412A
	v_exp_f32_e32 v43, v43                                     // 00000000A7E8: 7E56412B
	v_exp_f32_e32 v44, v44                                     // 00000000A7EC: 7E58412C
	v_exp_f32_e32 v45, v45                                     // 00000000A7F0: 7E5A412D
	buffer_load_dwordx4 a[28:31], v49, s[12:15], 0 offen       // 00000000A7F4: E05C1000 80831C31
	s_add_u32 s12, s78, s12                                    // 00000000A7FC: 800C0C4E
	s_addc_u32 s13, 0, s13                                     // 00000000A800: 820D0D80
	v_add_f32_e64 v42, v42, 1.0                                // 00000000A804: D101002A 0001E52A
	v_add_f32_e64 v43, v43, 1.0                                // 00000000A80C: D101002B 0001E52B
	v_add_f32_e64 v44, v44, 1.0                                // 00000000A814: D101002C 0001E52C
	v_add_f32_e64 v45, v45, 1.0                                // 00000000A81C: D101002D 0001E52D
	v_rcp_f32_e32 v42, v42                                     // 00000000A824: 7E54452A
	v_rcp_f32_e32 v43, v43                                     // 00000000A828: 7E56452B
	v_rcp_f32_e32 v44, v44                                     // 00000000A82C: 7E58452C
	v_rcp_f32_e32 v45, v45                                     // 00000000A830: 7E5A452D
	v_pk_mul_f32 v[140:141], v[140:141], v[42:43]              // 00000000A834: D3B1408C 1802558C
	v_pk_mul_f32 v[142:143], v[142:143], v[44:45]              // 00000000A83C: D3B1408E 1802598E
	v_pk_mul_f32 v[140:141], v[140:141], v[76:77]              // 00000000A844: D3B1408C 1802998C
	v_pk_mul_f32 v[142:143], v[142:143], v[78:79]              // 00000000A84C: D3B1408E 18029D8E
	s_waitcnt vmcnt(16)                                        // 00000000A854: BF8C4F70
	buffer_load_dwordx4 a[32:35], v46, s[12:15], 0 offen       // 00000000A858: E05C1000 8083202E
	v_mul_f32_e64 v42, -v144, s6                               // 00000000A860: D105002A 20000D90
	v_mul_f32_e64 v43, -v145, s6                               // 00000000A868: D105002B 20000D91
	v_mul_f32_e64 v44, -v146, s6                               // 00000000A870: D105002C 20000D92
	v_mul_f32_e64 v45, -v147, s6                               // 00000000A878: D105002D 20000D93
	v_exp_f32_e32 v42, v42                                     // 00000000A880: 7E54412A
	v_exp_f32_e32 v43, v43                                     // 00000000A884: 7E56412B
	v_exp_f32_e32 v44, v44                                     // 00000000A888: 7E58412C
	v_exp_f32_e32 v45, v45                                     // 00000000A88C: 7E5A412D
	buffer_load_dwordx4 a[36:39], v47, s[12:15], 0 offen       // 00000000A890: E05C1000 8083242F
	v_add_f32_e64 v42, v42, 1.0                                // 00000000A898: D101002A 0001E52A
	v_add_f32_e64 v43, v43, 1.0                                // 00000000A8A0: D101002B 0001E52B
	v_add_f32_e64 v44, v44, 1.0                                // 00000000A8A8: D101002C 0001E52C
	v_add_f32_e64 v45, v45, 1.0                                // 00000000A8B0: D101002D 0001E52D
	v_rcp_f32_e32 v42, v42                                     // 00000000A8B8: 7E54452A
	v_rcp_f32_e32 v43, v43                                     // 00000000A8BC: 7E56452B
	v_rcp_f32_e32 v44, v44                                     // 00000000A8C0: 7E58452C
	v_rcp_f32_e32 v45, v45                                     // 00000000A8C4: 7E5A452D
	v_pk_mul_f32 v[144:145], v[144:145], v[42:43]              // 00000000A8C8: D3B14090 18025590
	v_pk_mul_f32 v[146:147], v[146:147], v[44:45]              // 00000000A8D0: D3B14092 18025992
	v_pk_mul_f32 v[144:145], v[144:145], v[80:81]              // 00000000A8D8: D3B14090 1802A190
	v_pk_mul_f32 v[146:147], v[146:147], v[82:83]              // 00000000A8E0: D3B14092 1802A592
	buffer_load_dwordx4 a[40:43], v48, s[12:15], 0 offen       // 00000000A8E8: E05C1000 80832830
	v_mul_f32_e64 v42, -v148, s6                               // 00000000A8F0: D105002A 20000D94
	v_mul_f32_e64 v43, -v149, s6                               // 00000000A8F8: D105002B 20000D95
	v_mul_f32_e64 v44, -v150, s6                               // 00000000A900: D105002C 20000D96
	v_mul_f32_e64 v45, -v151, s6                               // 00000000A908: D105002D 20000D97
	v_exp_f32_e32 v42, v42                                     // 00000000A910: 7E54412A
	v_exp_f32_e32 v43, v43                                     // 00000000A914: 7E56412B
	v_exp_f32_e32 v44, v44                                     // 00000000A918: 7E58412C
	v_exp_f32_e32 v45, v45                                     // 00000000A91C: 7E5A412D
	buffer_load_dwordx4 a[44:47], v49, s[12:15], 0 offen       // 00000000A920: E05C1000 80832C31
	s_add_u32 s12, s78, s12                                    // 00000000A928: 800C0C4E
	s_addc_u32 s13, 0, s13                                     // 00000000A92C: 820D0D80
	v_add_f32_e64 v42, v42, 1.0                                // 00000000A930: D101002A 0001E52A
	v_add_f32_e64 v43, v43, 1.0                                // 00000000A938: D101002B 0001E52B
	v_add_f32_e64 v44, v44, 1.0                                // 00000000A940: D101002C 0001E52C
	v_add_f32_e64 v45, v45, 1.0                                // 00000000A948: D101002D 0001E52D
	v_rcp_f32_e32 v42, v42                                     // 00000000A950: 7E54452A
	v_rcp_f32_e32 v43, v43                                     // 00000000A954: 7E56452B
	v_rcp_f32_e32 v44, v44                                     // 00000000A958: 7E58452C
	v_rcp_f32_e32 v45, v45                                     // 00000000A95C: 7E5A452D
	v_pk_mul_f32 v[148:149], v[148:149], v[42:43]              // 00000000A960: D3B14094 18025594
	v_pk_mul_f32 v[150:151], v[150:151], v[44:45]              // 00000000A968: D3B14096 18025996
	v_pk_mul_f32 v[148:149], v[148:149], v[84:85]              // 00000000A970: D3B14094 1802A994
	v_pk_mul_f32 v[150:151], v[150:151], v[86:87]              // 00000000A978: D3B14096 1802AD96
	s_waitcnt vmcnt(16)                                        // 00000000A980: BF8C4F70
	buffer_load_dwordx4 a[48:51], v46, s[12:15], 0 offen       // 00000000A984: E05C1000 8083302E
	v_mul_f32_e64 v42, -v152, s6                               // 00000000A98C: D105002A 20000D98
	v_mul_f32_e64 v43, -v153, s6                               // 00000000A994: D105002B 20000D99
	v_mul_f32_e64 v44, -v154, s6                               // 00000000A99C: D105002C 20000D9A
	v_mul_f32_e64 v45, -v155, s6                               // 00000000A9A4: D105002D 20000D9B
	v_exp_f32_e32 v42, v42                                     // 00000000A9AC: 7E54412A
	v_exp_f32_e32 v43, v43                                     // 00000000A9B0: 7E56412B
	v_exp_f32_e32 v44, v44                                     // 00000000A9B4: 7E58412C
	v_exp_f32_e32 v45, v45                                     // 00000000A9B8: 7E5A412D
	buffer_load_dwordx4 a[52:55], v47, s[12:15], 0 offen       // 00000000A9BC: E05C1000 8083342F
	v_add_f32_e64 v42, v42, 1.0                                // 00000000A9C4: D101002A 0001E52A
	v_add_f32_e64 v43, v43, 1.0                                // 00000000A9CC: D101002B 0001E52B
	v_add_f32_e64 v44, v44, 1.0                                // 00000000A9D4: D101002C 0001E52C
	v_add_f32_e64 v45, v45, 1.0                                // 00000000A9DC: D101002D 0001E52D
	v_rcp_f32_e32 v42, v42                                     // 00000000A9E4: 7E54452A
	v_rcp_f32_e32 v43, v43                                     // 00000000A9E8: 7E56452B
	v_rcp_f32_e32 v44, v44                                     // 00000000A9EC: 7E58452C
	v_rcp_f32_e32 v45, v45                                     // 00000000A9F0: 7E5A452D
	v_pk_mul_f32 v[152:153], v[152:153], v[42:43]              // 00000000A9F4: D3B14098 18025598
	v_pk_mul_f32 v[154:155], v[154:155], v[44:45]              // 00000000A9FC: D3B1409A 1802599A
	v_pk_mul_f32 v[152:153], v[152:153], v[88:89]              // 00000000AA04: D3B14098 1802B198
	v_pk_mul_f32 v[154:155], v[154:155], v[90:91]              // 00000000AA0C: D3B1409A 1802B59A
	buffer_load_dwordx4 a[56:59], v48, s[12:15], 0 offen       // 00000000AA14: E05C1000 80833830
	v_mul_f32_e64 v42, -v156, s6                               // 00000000AA1C: D105002A 20000D9C
	v_mul_f32_e64 v43, -v157, s6                               // 00000000AA24: D105002B 20000D9D
	v_mul_f32_e64 v44, -v158, s6                               // 00000000AA2C: D105002C 20000D9E
	v_mul_f32_e64 v45, -v159, s6                               // 00000000AA34: D105002D 20000D9F
	v_exp_f32_e32 v42, v42                                     // 00000000AA3C: 7E54412A
	v_exp_f32_e32 v43, v43                                     // 00000000AA40: 7E56412B
	v_exp_f32_e32 v44, v44                                     // 00000000AA44: 7E58412C
	v_exp_f32_e32 v45, v45                                     // 00000000AA48: 7E5A412D
	buffer_load_dwordx4 a[60:63], v49, s[12:15], 0 offen       // 00000000AA4C: E05C1000 80833C31
	s_add_u32 s12, s78, s12                                    // 00000000AA54: 800C0C4E
	s_addc_u32 s13, 0, s13                                     // 00000000AA58: 820D0D80
	v_add_f32_e64 v42, v42, 1.0                                // 00000000AA5C: D101002A 0001E52A
	v_add_f32_e64 v43, v43, 1.0                                // 00000000AA64: D101002B 0001E52B
	v_add_f32_e64 v44, v44, 1.0                                // 00000000AA6C: D101002C 0001E52C
	v_add_f32_e64 v45, v45, 1.0                                // 00000000AA74: D101002D 0001E52D
	v_rcp_f32_e32 v42, v42                                     // 00000000AA7C: 7E54452A
	v_rcp_f32_e32 v43, v43                                     // 00000000AA80: 7E56452B
	v_rcp_f32_e32 v44, v44                                     // 00000000AA84: 7E58452C
	v_rcp_f32_e32 v45, v45                                     // 00000000AA88: 7E5A452D
	v_pk_mul_f32 v[156:157], v[156:157], v[42:43]              // 00000000AA8C: D3B1409C 1802559C
	v_pk_mul_f32 v[158:159], v[158:159], v[44:45]              // 00000000AA94: D3B1409E 1802599E
	v_pk_mul_f32 v[156:157], v[156:157], v[92:93]              // 00000000AA9C: D3B1409C 1802B99C
	v_pk_mul_f32 v[158:159], v[158:159], v[94:95]              // 00000000AAA4: D3B1409E 1802BD9E
	s_waitcnt vmcnt(16)                                        // 00000000AAAC: BF8C4F70
	buffer_load_dwordx4 a[64:67], v46, s[12:15], 0 offen       // 00000000AAB0: E05C1000 8083402E
	v_mul_f32_e64 v42, -v160, s6                               // 00000000AAB8: D105002A 20000DA0
	v_mul_f32_e64 v43, -v161, s6                               // 00000000AAC0: D105002B 20000DA1
	v_mul_f32_e64 v44, -v162, s6                               // 00000000AAC8: D105002C 20000DA2
	v_mul_f32_e64 v45, -v163, s6                               // 00000000AAD0: D105002D 20000DA3
	v_exp_f32_e32 v42, v42                                     // 00000000AAD8: 7E54412A
	v_exp_f32_e32 v43, v43                                     // 00000000AADC: 7E56412B
	v_exp_f32_e32 v44, v44                                     // 00000000AAE0: 7E58412C
	v_exp_f32_e32 v45, v45                                     // 00000000AAE4: 7E5A412D
	buffer_load_dwordx4 a[68:71], v47, s[12:15], 0 offen       // 00000000AAE8: E05C1000 8083442F
	v_add_f32_e64 v42, v42, 1.0                                // 00000000AAF0: D101002A 0001E52A
	v_add_f32_e64 v43, v43, 1.0                                // 00000000AAF8: D101002B 0001E52B
	v_add_f32_e64 v44, v44, 1.0                                // 00000000AB00: D101002C 0001E52C
	v_add_f32_e64 v45, v45, 1.0                                // 00000000AB08: D101002D 0001E52D
	v_rcp_f32_e32 v42, v42                                     // 00000000AB10: 7E54452A
	v_rcp_f32_e32 v43, v43                                     // 00000000AB14: 7E56452B
	v_rcp_f32_e32 v44, v44                                     // 00000000AB18: 7E58452C
	v_rcp_f32_e32 v45, v45                                     // 00000000AB1C: 7E5A452D
	v_pk_mul_f32 v[160:161], v[160:161], v[42:43]              // 00000000AB20: D3B140A0 180255A0
	v_pk_mul_f32 v[162:163], v[162:163], v[44:45]              // 00000000AB28: D3B140A2 180259A2
	v_pk_mul_f32 v[160:161], v[160:161], v[96:97]              // 00000000AB30: D3B140A0 1802C1A0
	v_pk_mul_f32 v[162:163], v[162:163], v[98:99]              // 00000000AB38: D3B140A2 1802C5A2
	buffer_load_dwordx4 a[72:75], v48, s[12:15], 0 offen       // 00000000AB40: E05C1000 80834830
	v_mul_f32_e64 v42, -v164, s6                               // 00000000AB48: D105002A 20000DA4
	v_mul_f32_e64 v43, -v165, s6                               // 00000000AB50: D105002B 20000DA5
	v_mul_f32_e64 v44, -v166, s6                               // 00000000AB58: D105002C 20000DA6
	v_mul_f32_e64 v45, -v167, s6                               // 00000000AB60: D105002D 20000DA7
	v_exp_f32_e32 v42, v42                                     // 00000000AB68: 7E54412A
	v_exp_f32_e32 v43, v43                                     // 00000000AB6C: 7E56412B
	v_exp_f32_e32 v44, v44                                     // 00000000AB70: 7E58412C
	v_exp_f32_e32 v45, v45                                     // 00000000AB74: 7E5A412D
	buffer_load_dwordx4 a[76:79], v49, s[12:15], 0 offen       // 00000000AB78: E05C1000 80834C31
	v_add_f32_e64 v42, v42, 1.0                                // 00000000AB80: D101002A 0001E52A
	v_add_f32_e64 v43, v43, 1.0                                // 00000000AB88: D101002B 0001E52B
	v_add_f32_e64 v44, v44, 1.0                                // 00000000AB90: D101002C 0001E52C
	v_add_f32_e64 v45, v45, 1.0                                // 00000000AB98: D101002D 0001E52D
	v_rcp_f32_e32 v42, v42                                     // 00000000ABA0: 7E54452A
	v_rcp_f32_e32 v43, v43                                     // 00000000ABA4: 7E56452B
	v_rcp_f32_e32 v44, v44                                     // 00000000ABA8: 7E58452C
	v_rcp_f32_e32 v45, v45                                     // 00000000ABAC: 7E5A452D
	v_pk_mul_f32 v[164:165], v[164:165], v[42:43]              // 00000000ABB0: D3B140A4 180255A4
	v_pk_mul_f32 v[166:167], v[166:167], v[44:45]              // 00000000ABB8: D3B140A6 180259A6
	v_pk_mul_f32 v[164:165], v[164:165], v[100:101]            // 00000000ABC0: D3B140A4 1802C9A4
	v_pk_mul_f32 v[166:167], v[166:167], v[102:103]            // 00000000ABC8: D3B140A6 1802CDA6
	v_mul_f32_dpp v128, v18, v128 row_newbcast:0 row_mask:0xf bank_mask:0xf// 00000000ABD0: 0B0100FA FF015012
	v_mul_f32_dpp v129, v18, v129 row_newbcast:1 row_mask:0xf bank_mask:0xf// 00000000ABD8: 0B0302FA FF015112
	v_mul_f32_dpp v130, v18, v130 row_newbcast:2 row_mask:0xf bank_mask:0xf// 00000000ABE0: 0B0504FA FF015212
	v_mul_f32_dpp v131, v18, v131 row_newbcast:3 row_mask:0xf bank_mask:0xf// 00000000ABE8: 0B0706FA FF015312
	v_mul_f32_dpp v132, v18, v132 row_newbcast:0 row_mask:0xf bank_mask:0xf// 00000000ABF0: 0B0908FA FF015012
	v_mul_f32_dpp v133, v18, v133 row_newbcast:1 row_mask:0xf bank_mask:0xf// 00000000ABF8: 0B0B0AFA FF015112
	v_mul_f32_dpp v134, v18, v134 row_newbcast:2 row_mask:0xf bank_mask:0xf// 00000000AC00: 0B0D0CFA FF015212
	v_mul_f32_dpp v135, v18, v135 row_newbcast:3 row_mask:0xf bank_mask:0xf// 00000000AC08: 0B0F0EFA FF015312
	v_mul_f32_dpp v136, v18, v136 row_newbcast:4 row_mask:0xf bank_mask:0xf// 00000000AC10: 0B1110FA FF015412
	v_mul_f32_dpp v137, v18, v137 row_newbcast:5 row_mask:0xf bank_mask:0xf// 00000000AC18: 0B1312FA FF015512
	v_mul_f32_dpp v138, v18, v138 row_newbcast:6 row_mask:0xf bank_mask:0xf// 00000000AC20: 0B1514FA FF015612
	v_mul_f32_dpp v139, v18, v139 row_newbcast:7 row_mask:0xf bank_mask:0xf// 00000000AC28: 0B1716FA FF015712
	v_mul_f32_dpp v140, v18, v140 row_newbcast:4 row_mask:0xf bank_mask:0xf// 00000000AC30: 0B1918FA FF015412
	v_mul_f32_dpp v141, v18, v141 row_newbcast:5 row_mask:0xf bank_mask:0xf// 00000000AC38: 0B1B1AFA FF015512
	v_mul_f32_dpp v142, v18, v142 row_newbcast:6 row_mask:0xf bank_mask:0xf// 00000000AC40: 0B1D1CFA FF015612
	v_mul_f32_dpp v143, v18, v143 row_newbcast:7 row_mask:0xf bank_mask:0xf// 00000000AC48: 0B1F1EFA FF015712
	v_mul_f32_dpp v144, v18, v144 row_newbcast:8 row_mask:0xf bank_mask:0xf// 00000000AC50: 0B2120FA FF015812
	v_mul_f32_dpp v145, v18, v145 row_newbcast:9 row_mask:0xf bank_mask:0xf// 00000000AC58: 0B2322FA FF015912
	v_mul_f32_dpp v146, v18, v146 row_newbcast:10 row_mask:0xf bank_mask:0xf// 00000000AC60: 0B2524FA FF015A12
	v_mul_f32_dpp v147, v18, v147 row_newbcast:11 row_mask:0xf bank_mask:0xf// 00000000AC68: 0B2726FA FF015B12
	v_mul_f32_dpp v148, v18, v148 row_newbcast:8 row_mask:0xf bank_mask:0xf// 00000000AC70: 0B2928FA FF015812
	v_mul_f32_dpp v149, v18, v149 row_newbcast:9 row_mask:0xf bank_mask:0xf// 00000000AC78: 0B2B2AFA FF015912
	v_mul_f32_dpp v150, v18, v150 row_newbcast:10 row_mask:0xf bank_mask:0xf// 00000000AC80: 0B2D2CFA FF015A12
	v_mul_f32_dpp v151, v18, v151 row_newbcast:11 row_mask:0xf bank_mask:0xf// 00000000AC88: 0B2F2EFA FF015B12
	v_mul_f32_dpp v152, v18, v152 row_newbcast:12 row_mask:0xf bank_mask:0xf// 00000000AC90: 0B3130FA FF015C12
	v_mul_f32_dpp v153, v18, v153 row_newbcast:13 row_mask:0xf bank_mask:0xf// 00000000AC98: 0B3332FA FF015D12
	v_mul_f32_dpp v154, v18, v154 row_newbcast:14 row_mask:0xf bank_mask:0xf// 00000000ACA0: 0B3534FA FF015E12
	v_mul_f32_dpp v155, v18, v155 row_newbcast:15 row_mask:0xf bank_mask:0xf// 00000000ACA8: 0B3736FA FF015F12
	v_mul_f32_dpp v156, v18, v156 row_newbcast:12 row_mask:0xf bank_mask:0xf// 00000000ACB0: 0B3938FA FF015C12
	v_mul_f32_dpp v157, v18, v157 row_newbcast:13 row_mask:0xf bank_mask:0xf// 00000000ACB8: 0B3B3AFA FF015D12
	v_mul_f32_dpp v158, v18, v158 row_newbcast:14 row_mask:0xf bank_mask:0xf// 00000000ACC0: 0B3D3CFA FF015E12
	v_mul_f32_dpp v159, v18, v159 row_newbcast:15 row_mask:0xf bank_mask:0xf// 00000000ACC8: 0B3F3EFA FF015F12
	v_mul_f32_dpp v160, v19, v160 row_newbcast:0 row_mask:0xf bank_mask:0xf// 00000000ACD0: 0B4140FA FF015013
	v_mul_f32_dpp v161, v19, v161 row_newbcast:1 row_mask:0xf bank_mask:0xf// 00000000ACD8: 0B4342FA FF015113
	v_mul_f32_dpp v162, v19, v162 row_newbcast:2 row_mask:0xf bank_mask:0xf// 00000000ACE0: 0B4544FA FF015213
	v_mul_f32_dpp v163, v19, v163 row_newbcast:3 row_mask:0xf bank_mask:0xf// 00000000ACE8: 0B4746FA FF015313
	v_mul_f32_dpp v164, v19, v164 row_newbcast:0 row_mask:0xf bank_mask:0xf// 00000000ACF0: 0B4948FA FF015013
	v_mul_f32_dpp v165, v19, v165 row_newbcast:1 row_mask:0xf bank_mask:0xf// 00000000ACF8: 0B4B4AFA FF015113
	v_mul_f32_dpp v166, v19, v166 row_newbcast:2 row_mask:0xf bank_mask:0xf// 00000000AD00: 0B4D4CFA FF015213
	v_mul_f32_dpp v167, v19, v167 row_newbcast:3 row_mask:0xf bank_mask:0xf// 00000000AD08: 0B4F4EFA FF015313
	v_lshlrev_b32_e32 v42, 2, v0                               // 00000000AD10: 24540082
	s_mul_i32 s60, s82, s71                                    // 00000000AD14: 923C4752
	v_add_u32_e64 v80, v42, s60                                // 00000000AD18: D1340050 0000792A
	v_mov_b32_e32 v81, 0                                       // 00000000AD20: 7EA20280
	s_mul_i32 s60, s83, s71                                    // 00000000AD24: 923C4753
	v_add_u32_e64 v82, v42, s60                                // 00000000AD28: D1340052 0000792A
	v_mov_b32_e32 v83, 0                                       // 00000000AD30: 7EA60280
	s_mul_i32 s60, s84, s71                                    // 00000000AD34: 923C4754
	v_add_u32_e64 v84, v42, s60                                // 00000000AD38: D1340054 0000792A
	v_mov_b32_e32 v85, 0                                       // 00000000AD40: 7EAA0280
	s_mul_i32 s60, s85, s71                                    // 00000000AD44: 923C4755
	v_add_u32_e64 v86, v42, s60                                // 00000000AD48: D1340056 0000792A
	v_mov_b32_e32 v87, 0                                       // 00000000AD50: 7EAE0280
	s_mul_i32 s60, s86, s71                                    // 00000000AD54: 923C4756
	v_add_u32_e64 v88, v42, s60                                // 00000000AD58: D1340058 0000792A
	v_mov_b32_e32 v89, 0                                       // 00000000AD60: 7EB20280
	s_mul_i32 s60, s87, s71                                    // 00000000AD64: 923C4757
	v_add_u32_e64 v90, v42, s60                                // 00000000AD68: D134005A 0000792A
	v_mov_b32_e32 v91, 0                                       // 00000000AD70: 7EB60280
	s_mul_i32 s60, s88, s71                                    // 00000000AD74: 923C4758
	v_add_u32_e64 v92, v42, s60                                // 00000000AD78: D134005C 0000792A
	v_mov_b32_e32 v93, 0                                       // 00000000AD80: 7EBA0280
	s_mul_i32 s60, s89, s71                                    // 00000000AD84: 923C4759
	v_add_u32_e64 v94, v42, s60                                // 00000000AD88: D134005E 0000792A
	v_mov_b32_e32 v95, 0                                       // 00000000AD90: 7EBE0280
	buffer_load_dword v12, v5, s[16:19], 0 offen               // 00000000AD94: E0501000 80040C05
	v_mov_b32_e32 v22, 0x358637bd                              // 00000000AD9C: 7E2C02FF 358637BD
	v_mov_b32_e32 v23, 0x358637bd                              // 00000000ADA4: 7E2E02FF 358637BD
	v_max3_f32 v22, |v128|, |v129|, v22                        // 00000000ADAC: D1D30316 045B0380
	v_max3_f32 v22, |v130|, |v131|, v22                        // 00000000ADB4: D1D30316 045B0782
	v_max3_f32 v23, |v132|, |v133|, v23                        // 00000000ADBC: D1D30317 045F0B84
	v_max3_f32 v23, |v134|, |v135|, v23                        // 00000000ADC4: D1D30317 045F0F86
	v_max3_f32 v22, |v136|, |v137|, v22                        // 00000000ADCC: D1D30316 045B1388
	v_max3_f32 v22, |v138|, |v139|, v22                        // 00000000ADD4: D1D30316 045B178A
	v_max3_f32 v23, |v140|, |v141|, v23                        // 00000000ADDC: D1D30317 045F1B8C
	v_max3_f32 v23, |v142|, |v143|, v23                        // 00000000ADE4: D1D30317 045F1F8E
	v_max3_f32 v22, |v144|, |v145|, v22                        // 00000000ADEC: D1D30316 045B2390
	v_max3_f32 v22, |v146|, |v147|, v22                        // 00000000ADF4: D1D30316 045B2792
	v_max3_f32 v23, |v148|, |v149|, v23                        // 00000000ADFC: D1D30317 045F2B94
	v_max3_f32 v23, |v150|, |v151|, v23                        // 00000000AE04: D1D30317 045F2F96
	v_max3_f32 v22, |v152|, |v153|, v22                        // 00000000AE0C: D1D30316 045B3398
	v_max3_f32 v22, |v154|, |v155|, v22                        // 00000000AE14: D1D30316 045B379A
	v_max3_f32 v23, |v156|, |v157|, v23                        // 00000000AE1C: D1D30317 045F3B9C
	v_max3_f32 v23, |v158|, |v159|, v23                        // 00000000AE24: D1D30317 045F3F9E
	v_max3_f32 v22, |v160|, |v161|, v22                        // 00000000AE2C: D1D30316 045B43A0
	v_max3_f32 v22, |v162|, |v163|, v22                        // 00000000AE34: D1D30316 045B47A2
	v_max3_f32 v23, |v164|, |v165|, v23                        // 00000000AE3C: D1D30317 045F4BA4
	v_max3_f32 v23, |v166|, |v167|, v23                        // 00000000AE44: D1D30317 045F4FA6
	v_lshlrev_b32_e32 v42, 3, v0                               // 00000000AE4C: 24540083
	s_mul_i32 s60, 0x200, s5                                   // 00000000AE50: 923C05FF 00000200
	v_add_u32_e32 v42, s60, v42                                // 00000000AE58: 6854543C
	ds_write_b64 v42, v[22:23]                                 // 00000000AE5C: D89A0000 0000162A
	s_waitcnt lgkmcnt(0)                                       // 00000000AE64: BF8CC07F
	s_barrier                                                  // 00000000AE68: BF8A0000
	v_and_b32_e32 v42, 15, v0                                  // 00000000AE6C: 2654008F
	v_lshlrev_b32_e32 v42, 3, v42                              // 00000000AE70: 24545483
	ds_read_b64 v[96:97], v42                                  // 00000000AE74: D8EC0000 6000002A
	ds_read_b64 v[98:99], v42 offset:128                       // 00000000AE7C: D8EC0080 6200002A
	ds_read_b64 v[100:101], v42 offset:256                     // 00000000AE84: D8EC0100 6400002A
	ds_read_b64 v[102:103], v42 offset:384                     // 00000000AE8C: D8EC0180 6600002A
	ds_read_b64 v[104:105], v42 offset:512                     // 00000000AE94: D8EC0200 6800002A
	ds_read_b64 v[106:107], v42 offset:640                     // 00000000AE9C: D8EC0280 6A00002A
	ds_read_b64 v[108:109], v42 offset:768                     // 00000000AEA4: D8EC0300 6C00002A
	ds_read_b64 v[110:111], v42 offset:896                     // 00000000AEAC: D8EC0380 6E00002A
	ds_read_b64 v[112:113], v42 offset:1024                    // 00000000AEB4: D8EC0400 7000002A
	ds_read_b64 v[114:115], v42 offset:1152                    // 00000000AEBC: D8EC0480 7200002A
	ds_read_b64 v[116:117], v42 offset:1280                    // 00000000AEC4: D8EC0500 7400002A
	ds_read_b64 v[118:119], v42 offset:1408                    // 00000000AECC: D8EC0580 7600002A
	ds_read_b64 v[120:121], v42 offset:1536                    // 00000000AED4: D8EC0600 7800002A
	ds_read_b64 v[122:123], v42 offset:1664                    // 00000000AEDC: D8EC0680 7A00002A
	ds_read_b64 v[124:125], v42 offset:1792                    // 00000000AEE4: D8EC0700 7C00002A
	ds_read_b64 v[126:127], v42 offset:1920                    // 00000000AEEC: D8EC0780 7E00002A
	s_waitcnt lgkmcnt(0)                                       // 00000000AEF4: BF8CC07F
	v_max3_f32 v22, |v96|, |v98|, v22                          // 00000000AEF8: D1D30316 045AC560
	v_max3_f32 v23, |v97|, |v99|, v23                          // 00000000AF00: D1D30317 045EC761
	v_max3_f32 v22, |v100|, |v102|, v22                        // 00000000AF08: D1D30316 045ACD64
	v_max3_f32 v23, |v101|, |v103|, v23                        // 00000000AF10: D1D30317 045ECF65
	v_max3_f32 v22, |v104|, |v106|, v22                        // 00000000AF18: D1D30316 045AD568
	v_max3_f32 v23, |v105|, |v107|, v23                        // 00000000AF20: D1D30317 045ED769
	v_max3_f32 v22, |v108|, |v110|, v22                        // 00000000AF28: D1D30316 045ADD6C
	v_max3_f32 v23, |v109|, |v111|, v23                        // 00000000AF30: D1D30317 045EDF6D
	v_max3_f32 v22, |v112|, |v114|, v22                        // 00000000AF38: D1D30316 045AE570
	v_max3_f32 v23, |v113|, |v115|, v23                        // 00000000AF40: D1D30317 045EE771
	v_max3_f32 v22, |v116|, |v118|, v22                        // 00000000AF48: D1D30316 045AED74
	v_max3_f32 v23, |v117|, |v119|, v23                        // 00000000AF50: D1D30317 045EEF75
	v_max3_f32 v22, |v120|, |v122|, v22                        // 00000000AF58: D1D30316 045AF578
	v_max3_f32 v23, |v121|, |v123|, v23                        // 00000000AF60: D1D30317 045EF779
	v_max3_f32 v22, |v124|, |v126|, v22                        // 00000000AF68: D1D30316 045AFD7C
	v_max3_f32 v23, |v125|, |v127|, v23                        // 00000000AF70: D1D30317 045EFF7D
	v_rcp_f32_e32 v22, v22                                     // 00000000AF78: 7E2C4516
	v_rcp_f32_e32 v23, v23                                     // 00000000AF7C: 7E2E4517
	v_mov_b32_e32 v42, 0x43700000                              // 00000000AF80: 7E5402FF 43700000
	v_mul_f32_e32 v22, v42, v22                                // 00000000AF88: 0A2C2D2A
	v_mul_f32_e32 v23, v42, v23                                // 00000000AF8C: 0A2E2F2A
	v_mul_f32_e32 v128, v22, v128                              // 00000000AF90: 0B010116
	v_mul_f32_e32 v129, v22, v129                              // 00000000AF94: 0B030316
	v_mul_f32_e32 v130, v22, v130                              // 00000000AF98: 0B050516
	v_mul_f32_e32 v131, v22, v131                              // 00000000AF9C: 0B070716
	v_cvt_pk_fp8_f32 v128, v128, v129                          // 00000000AFA0: D2A20080 00030380
	v_cvt_pk_fp8_f32 v128, v130, v131 op_sel:[0,0,1]           // 00000000AFA8: D2A24080 00030782
	v_mul_f32_e32 v132, v23, v132                              // 00000000AFB0: 0B090917
	v_mul_f32_e32 v133, v23, v133                              // 00000000AFB4: 0B0B0B17
	v_mul_f32_e32 v134, v23, v134                              // 00000000AFB8: 0B0D0D17
	v_mul_f32_e32 v135, v23, v135                              // 00000000AFBC: 0B0F0F17
	v_cvt_pk_fp8_f32 v129, v132, v133                          // 00000000AFC0: D2A20081 00030B84
	v_cvt_pk_fp8_f32 v129, v134, v135 op_sel:[0,0,1]           // 00000000AFC8: D2A24081 00030F86
	v_mul_f32_e32 v136, v22, v136                              // 00000000AFD0: 0B111116
	v_mul_f32_e32 v137, v22, v137                              // 00000000AFD4: 0B131316
	v_mul_f32_e32 v138, v22, v138                              // 00000000AFD8: 0B151516
	v_mul_f32_e32 v139, v22, v139                              // 00000000AFDC: 0B171716
	v_cvt_pk_fp8_f32 v130, v136, v137                          // 00000000AFE0: D2A20082 00031388
	v_cvt_pk_fp8_f32 v130, v138, v139 op_sel:[0,0,1]           // 00000000AFE8: D2A24082 0003178A
	v_mul_f32_e32 v140, v23, v140                              // 00000000AFF0: 0B191917
	v_mul_f32_e32 v141, v23, v141                              // 00000000AFF4: 0B1B1B17
	v_mul_f32_e32 v142, v23, v142                              // 00000000AFF8: 0B1D1D17
	v_mul_f32_e32 v143, v23, v143                              // 00000000AFFC: 0B1F1F17
	v_cvt_pk_fp8_f32 v131, v140, v141                          // 00000000B000: D2A20083 00031B8C
	v_cvt_pk_fp8_f32 v131, v142, v143 op_sel:[0,0,1]           // 00000000B008: D2A24083 00031F8E
	v_mul_f32_e32 v144, v22, v144                              // 00000000B010: 0B212116
	v_mul_f32_e32 v145, v22, v145                              // 00000000B014: 0B232316
	v_mul_f32_e32 v146, v22, v146                              // 00000000B018: 0B252516
	v_mul_f32_e32 v147, v22, v147                              // 00000000B01C: 0B272716
	v_cvt_pk_fp8_f32 v132, v144, v145                          // 00000000B020: D2A20084 00032390
	v_cvt_pk_fp8_f32 v132, v146, v147 op_sel:[0,0,1]           // 00000000B028: D2A24084 00032792
	v_mul_f32_e32 v148, v23, v148                              // 00000000B030: 0B292917
	v_mul_f32_e32 v149, v23, v149                              // 00000000B034: 0B2B2B17
	v_mul_f32_e32 v150, v23, v150                              // 00000000B038: 0B2D2D17
	v_mul_f32_e32 v151, v23, v151                              // 00000000B03C: 0B2F2F17
	v_cvt_pk_fp8_f32 v133, v148, v149                          // 00000000B040: D2A20085 00032B94
	v_cvt_pk_fp8_f32 v133, v150, v151 op_sel:[0,0,1]           // 00000000B048: D2A24085 00032F96
	v_mul_f32_e32 v152, v22, v152                              // 00000000B050: 0B313116
	v_mul_f32_e32 v153, v22, v153                              // 00000000B054: 0B333316
	v_mul_f32_e32 v154, v22, v154                              // 00000000B058: 0B353516
	v_mul_f32_e32 v155, v22, v155                              // 00000000B05C: 0B373716
	v_cvt_pk_fp8_f32 v134, v152, v153                          // 00000000B060: D2A20086 00033398
	v_cvt_pk_fp8_f32 v134, v154, v155 op_sel:[0,0,1]           // 00000000B068: D2A24086 0003379A
	v_mul_f32_e32 v156, v23, v156                              // 00000000B070: 0B393917
	v_mul_f32_e32 v157, v23, v157                              // 00000000B074: 0B3B3B17
	v_mul_f32_e32 v158, v23, v158                              // 00000000B078: 0B3D3D17
	v_mul_f32_e32 v159, v23, v159                              // 00000000B07C: 0B3F3F17
	v_cvt_pk_fp8_f32 v135, v156, v157                          // 00000000B080: D2A20087 00033B9C
	v_cvt_pk_fp8_f32 v135, v158, v159 op_sel:[0,0,1]           // 00000000B088: D2A24087 00033F9E
	v_mul_f32_e32 v160, v22, v160                              // 00000000B090: 0B414116
	v_mul_f32_e32 v161, v22, v161                              // 00000000B094: 0B434316
	v_mul_f32_e32 v162, v22, v162                              // 00000000B098: 0B454516
	v_mul_f32_e32 v163, v22, v163                              // 00000000B09C: 0B474716
	v_cvt_pk_fp8_f32 v136, v160, v161                          // 00000000B0A0: D2A20088 000343A0
	v_cvt_pk_fp8_f32 v136, v162, v163 op_sel:[0,0,1]           // 00000000B0A8: D2A24088 000347A2
	v_mul_f32_e32 v164, v23, v164                              // 00000000B0B0: 0B494917
	v_mul_f32_e32 v165, v23, v165                              // 00000000B0B4: 0B4B4B17
	v_mul_f32_e32 v166, v23, v166                              // 00000000B0B8: 0B4D4D17
	v_mul_f32_e32 v167, v23, v167                              // 00000000B0BC: 0B4F4F17
	v_cvt_pk_fp8_f32 v137, v164, v165                          // 00000000B0C0: D2A20089 00034BA4
	v_cvt_pk_fp8_f32 v137, v166, v167 op_sel:[0,0,1]           // 00000000B0C8: D2A24089 00034FA6
	v_rcp_f32_e32 v24, v22                                     // 00000000B0D0: 7E304516
	v_rcp_f32_e32 v25, v23                                     // 00000000B0D4: 7E324517
	v_lshrrev_b32_e32 v42, 5, v0                               // 00000000B0D8: 20540085
	v_lshlrev_b32_e32 v43, 5, v42                              // 00000000B0DC: 24565485
	v_and_b32_e32 v42, 31, v0                                  // 00000000B0E0: 2654009F
	v_lshrrev_b32_e32 v44, 4, v42                              // 00000000B0E4: 20585484
	v_add_u32_e32 v43, v44, v43                                // 00000000B0E8: 6856572C
	v_and_b32_e32 v42, 15, v0                                  // 00000000B0EC: 2654008F
	v_lshlrev_b32_e32 v42, 1, v42                              // 00000000B0F0: 24545481
	v_add_u32_e32 v43, v42, v43                                // 00000000B0F4: 6856572A
	v_lshlrev_b32_e32 v42, 2, v43                              // 00000000B0F8: 24545682
	s_mul_i32 s60, 0x100, s5                                   // 00000000B0FC: 923C05FF 00000100
	v_add_u32_e64 v42, v42, s60                                // 00000000B104: D134002A 0000792A
	ds_write_b32 v42, v128 offset:2048                         // 00000000B10C: D81A0800 0000802A
	ds_write_b32 v42, v129 offset:7168                         // 00000000B114: D81A1C00 0000812A
	ds_write_b32 v42, v130 offset:3072                         // 00000000B11C: D81A0C00 0000822A
	ds_write_b32 v42, v131 offset:8192                         // 00000000B124: D81A2000 0000832A
	ds_write_b32 v42, v132 offset:4096                         // 00000000B12C: D81A1000 0000842A
	ds_write_b32 v42, v133 offset:9216                         // 00000000B134: D81A2400 0000852A
	ds_write_b32 v42, v134 offset:5120                         // 00000000B13C: D81A1400 0000862A
	ds_write_b32 v42, v135 offset:10240                        // 00000000B144: D81A2800 0000872A
	ds_write_b32 v42, v136 offset:6144                         // 00000000B14C: D81A1800 0000882A
	ds_write_b32 v42, v137 offset:11264                        // 00000000B154: D81A2C00 0000892A
	s_waitcnt lgkmcnt(0)                                       // 00000000B15C: BF8CC07F
	s_barrier                                                  // 00000000B160: BF8A0000
	v_lshrrev_b32_e32 v42, 4, v0                               // 00000000B164: 20540084
	v_lshlrev_b32_e32 v43, 6, v42                              // 00000000B168: 24565486
	v_and_b32_e32 v42, 15, v0                                  // 00000000B16C: 2654008F
	v_lshlrev_b32_e32 v42, 1, v42                              // 00000000B170: 24545481
	v_add_u32_e32 v43, v42, v43                                // 00000000B174: 6856572A
	v_lshlrev_b32_e32 v42, 2, v43                              // 00000000B178: 24545682
	ds_read_b64 v[128:129], v42 offset:2048                    // 00000000B17C: D8EC0800 8000002A
	ds_read_b64 v[130:131], v42 offset:2176                    // 00000000B184: D8EC0880 8200002A
	ds_read_b64 v[132:133], v42 offset:3072                    // 00000000B18C: D8EC0C00 8400002A
	ds_read_b64 v[134:135], v42 offset:3200                    // 00000000B194: D8EC0C80 8600002A
	ds_read_b64 v[136:137], v42 offset:4096                    // 00000000B19C: D8EC1000 8800002A
	ds_read_b64 v[138:139], v42 offset:4224                    // 00000000B1A4: D8EC1080 8A00002A
	ds_read_b64 v[140:141], v42 offset:5120                    // 00000000B1AC: D8EC1400 8C00002A
	ds_read_b64 v[142:143], v42 offset:5248                    // 00000000B1B4: D8EC1480 8E00002A
	ds_read_b64 v[144:145], v42 offset:6144                    // 00000000B1BC: D8EC1800 9000002A
	ds_read_b64 v[146:147], v42 offset:6272                    // 00000000B1C4: D8EC1880 9200002A
	ds_read_b64 v[148:149], v42 offset:7168                    // 00000000B1CC: D8EC1C00 9400002A
	ds_read_b64 v[150:151], v42 offset:7296                    // 00000000B1D4: D8EC1C80 9600002A
	ds_read_b64 v[152:153], v42 offset:8192                    // 00000000B1DC: D8EC2000 9800002A
	ds_read_b64 v[154:155], v42 offset:8320                    // 00000000B1E4: D8EC2080 9A00002A
	ds_read_b64 v[156:157], v42 offset:9216                    // 00000000B1EC: D8EC2400 9C00002A
	ds_read_b64 v[158:159], v42 offset:9344                    // 00000000B1F4: D8EC2480 9E00002A
	ds_read_b64 v[160:161], v42 offset:10240                   // 00000000B1FC: D8EC2800 A000002A
	ds_read_b64 v[162:163], v42 offset:10368                   // 00000000B204: D8EC2880 A200002A
	ds_read_b64 v[164:165], v42 offset:11264                   // 00000000B20C: D8EC2C00 A400002A
	ds_read_b64 v[166:167], v42 offset:11392                   // 00000000B214: D8EC2C80 A600002A
	s_add_u32 s12, s56, s12                                    // 00000000B21C: 800C0C38
	s_addc_u32 s13, 0, s13                                     // 00000000B220: 820D0D80
	s_add_u32 s16, s79, s16                                    // 00000000B224: 8010104F
	s_addc_u32 s17, 0, s17                                     // 00000000B228: 82111180
	s_mov_b32 s80, 0                                           // 00000000B22C: BED00080
	s_waitcnt vmcnt(0) expcnt(0) lgkmcnt(0)                    // 00000000B230: BF8C0000

000000000000b234 <label_210D>:
	s_waitcnt vmcnt(33)                                        // 00000000B234: BF8C8F71
	s_barrier                                                  // 00000000B238: BF8A0000
	v_mfma_f32_16x16x32_fp8_fp8 v[168:171], a[0:1], v[128:129], 0// 00000000B23C: D3F300A8 0A030100
	buffer_load_dwordx4 a[80:83], v46, s[12:15], 0 offen       // 00000000B244: E05C1000 8083502E
	v_mfma_f32_16x16x32_fp8_fp8 v[168:171], a[2:3], v[130:131], v[168:171]// 00000000B24C: D3F300A8 0EA30502
	v_mfma_f32_16x16x32_fp8_fp8 v[172:175], a[0:1], v[148:149], 0// 00000000B254: D3F300AC 0A032900
	v_mfma_f32_16x16x32_fp8_fp8 v[172:175], a[2:3], v[150:151], v[172:175]// 00000000B25C: D3F300AC 0EB32D02
	v_mfma_f32_16x16x32_fp8_fp8 v[176:179], a[4:5], v[128:129], 0// 00000000B264: D3F300B0 0A030104
	buffer_load_dwordx4 a[84:87], v47, s[12:15], 0 offen       // 00000000B26C: E05C1000 8083542F
	v_mfma_f32_16x16x32_fp8_fp8 v[176:179], a[6:7], v[130:131], v[176:179]// 00000000B274: D3F300B0 0EC30506
	v_mfma_f32_16x16x32_fp8_fp8 v[180:183], a[4:5], v[148:149], 0// 00000000B27C: D3F300B4 0A032904
	v_mfma_f32_16x16x32_fp8_fp8 v[180:183], a[6:7], v[150:151], v[180:183]// 00000000B284: D3F300B4 0ED32D06
	v_mfma_f32_16x16x32_fp8_fp8 v[184:187], a[8:9], v[128:129], 0// 00000000B28C: D3F300B8 0A030108
	buffer_load_dwordx4 a[88:91], v48, s[12:15], 0 offen       // 00000000B294: E05C1000 80835830
	v_mfma_f32_16x16x32_fp8_fp8 v[184:187], a[10:11], v[130:131], v[184:187]// 00000000B29C: D3F300B8 0EE3050A
	v_mfma_f32_16x16x32_fp8_fp8 v[188:191], a[8:9], v[148:149], 0// 00000000B2A4: D3F300BC 0A032908
	v_mfma_f32_16x16x32_fp8_fp8 v[188:191], a[10:11], v[150:151], v[188:191]// 00000000B2AC: D3F300BC 0EF32D0A
	v_mfma_f32_16x16x32_fp8_fp8 v[192:195], a[12:13], v[128:129], 0// 00000000B2B4: D3F300C0 0A03010C
	buffer_load_dwordx4 a[92:95], v49, s[12:15], 0 offen       // 00000000B2BC: E05C1000 80835C31
	s_add_u32 s12, s78, s12                                    // 00000000B2C4: 800C0C4E
	s_addc_u32 s13, 0, s13                                     // 00000000B2C8: 820D0D80
	v_mfma_f32_16x16x32_fp8_fp8 v[192:195], a[14:15], v[130:131], v[192:195]// 00000000B2CC: D3F300C0 0F03050E
	v_mfma_f32_16x16x32_fp8_fp8 v[196:199], a[12:13], v[148:149], 0// 00000000B2D4: D3F300C4 0A03290C
	v_mfma_f32_16x16x32_fp8_fp8 v[196:199], a[14:15], v[150:151], v[196:199]// 00000000B2DC: D3F300C4 0F132D0E
	s_waitcnt vmcnt(33)                                        // 00000000B2E4: BF8C8F71
	v_mfma_f32_16x16x32_fp8_fp8 v[168:171], a[16:17], v[132:133], v[168:171]// 00000000B2E8: D3F300A8 0EA30910
	buffer_load_dwordx4 a[96:99], v46, s[12:15], 0 offen       // 00000000B2F0: E05C1000 8083602E
	v_mfma_f32_16x16x32_fp8_fp8 v[168:171], a[18:19], v[134:135], v[168:171]// 00000000B2F8: D3F300A8 0EA30D12
	v_mfma_f32_16x16x32_fp8_fp8 v[172:175], a[16:17], v[152:153], v[172:175]// 00000000B300: D3F300AC 0EB33110
	v_mfma_f32_16x16x32_fp8_fp8 v[172:175], a[18:19], v[154:155], v[172:175]// 00000000B308: D3F300AC 0EB33512
	v_mfma_f32_16x16x32_fp8_fp8 v[176:179], a[20:21], v[132:133], v[176:179]// 00000000B310: D3F300B0 0EC30914
	buffer_load_dwordx4 a[100:103], v47, s[12:15], 0 offen     // 00000000B318: E05C1000 8083642F
	v_mfma_f32_16x16x32_fp8_fp8 v[176:179], a[22:23], v[134:135], v[176:179]// 00000000B320: D3F300B0 0EC30D16
	v_mfma_f32_16x16x32_fp8_fp8 v[180:183], a[20:21], v[152:153], v[180:183]// 00000000B328: D3F300B4 0ED33114
	v_mfma_f32_16x16x32_fp8_fp8 v[180:183], a[22:23], v[154:155], v[180:183]// 00000000B330: D3F300B4 0ED33516
	v_mfma_f32_16x16x32_fp8_fp8 v[184:187], a[24:25], v[132:133], v[184:187]// 00000000B338: D3F300B8 0EE30918
	buffer_load_dwordx4 a[104:107], v48, s[12:15], 0 offen     // 00000000B340: E05C1000 80836830
	v_mfma_f32_16x16x32_fp8_fp8 v[184:187], a[26:27], v[134:135], v[184:187]// 00000000B348: D3F300B8 0EE30D1A
	v_mfma_f32_16x16x32_fp8_fp8 v[188:191], a[24:25], v[152:153], v[188:191]// 00000000B350: D3F300BC 0EF33118
	v_mfma_f32_16x16x32_fp8_fp8 v[188:191], a[26:27], v[154:155], v[188:191]// 00000000B358: D3F300BC 0EF3351A
	v_mfma_f32_16x16x32_fp8_fp8 v[192:195], a[28:29], v[132:133], v[192:195]// 00000000B360: D3F300C0 0F03091C
	buffer_load_dwordx4 a[108:111], v49, s[12:15], 0 offen     // 00000000B368: E05C1000 80836C31
	s_add_u32 s12, s78, s12                                    // 00000000B370: 800C0C4E
	s_addc_u32 s13, 0, s13                                     // 00000000B374: 820D0D80
	v_mfma_f32_16x16x32_fp8_fp8 v[192:195], a[30:31], v[134:135], v[192:195]// 00000000B378: D3F300C0 0F030D1E
	v_mfma_f32_16x16x32_fp8_fp8 v[196:199], a[28:29], v[152:153], v[196:199]// 00000000B380: D3F300C4 0F13311C
	v_mfma_f32_16x16x32_fp8_fp8 v[196:199], a[30:31], v[154:155], v[196:199]// 00000000B388: D3F300C4 0F13351E
	s_waitcnt vmcnt(33)                                        // 00000000B390: BF8C8F71
	v_mfma_f32_16x16x32_fp8_fp8 v[168:171], a[32:33], v[136:137], v[168:171]// 00000000B394: D3F300A8 0EA31120
	buffer_load_dwordx4 a[112:115], v46, s[12:15], 0 offen     // 00000000B39C: E05C1000 8083702E
	v_mfma_f32_16x16x32_fp8_fp8 v[168:171], a[34:35], v[138:139], v[168:171]// 00000000B3A4: D3F300A8 0EA31522
	v_mfma_f32_16x16x32_fp8_fp8 v[172:175], a[32:33], v[156:157], v[172:175]// 00000000B3AC: D3F300AC 0EB33920
	v_mfma_f32_16x16x32_fp8_fp8 v[172:175], a[34:35], v[158:159], v[172:175]// 00000000B3B4: D3F300AC 0EB33D22
	v_mfma_f32_16x16x32_fp8_fp8 v[176:179], a[36:37], v[136:137], v[176:179]// 00000000B3BC: D3F300B0 0EC31124
	buffer_load_dwordx4 a[116:119], v47, s[12:15], 0 offen     // 00000000B3C4: E05C1000 8083742F
	v_mfma_f32_16x16x32_fp8_fp8 v[176:179], a[38:39], v[138:139], v[176:179]// 00000000B3CC: D3F300B0 0EC31526
	v_mfma_f32_16x16x32_fp8_fp8 v[180:183], a[36:37], v[156:157], v[180:183]// 00000000B3D4: D3F300B4 0ED33924
	v_mfma_f32_16x16x32_fp8_fp8 v[180:183], a[38:39], v[158:159], v[180:183]// 00000000B3DC: D3F300B4 0ED33D26
	v_mfma_f32_16x16x32_fp8_fp8 v[184:187], a[40:41], v[136:137], v[184:187]// 00000000B3E4: D3F300B8 0EE31128
	buffer_load_dwordx4 a[120:123], v48, s[12:15], 0 offen     // 00000000B3EC: E05C1000 80837830
	v_mfma_f32_16x16x32_fp8_fp8 v[184:187], a[42:43], v[138:139], v[184:187]// 00000000B3F4: D3F300B8 0EE3152A
	v_mfma_f32_16x16x32_fp8_fp8 v[188:191], a[40:41], v[156:157], v[188:191]// 00000000B3FC: D3F300BC 0EF33928
	v_mfma_f32_16x16x32_fp8_fp8 v[188:191], a[42:43], v[158:159], v[188:191]// 00000000B404: D3F300BC 0EF33D2A
	v_mfma_f32_16x16x32_fp8_fp8 v[192:195], a[44:45], v[136:137], v[192:195]// 00000000B40C: D3F300C0 0F03112C
	buffer_load_dwordx4 a[124:127], v49, s[12:15], 0 offen     // 00000000B414: E05C1000 80837C31
	s_add_u32 s12, s78, s12                                    // 00000000B41C: 800C0C4E
	s_addc_u32 s13, 0, s13                                     // 00000000B420: 820D0D80
	v_mfma_f32_16x16x32_fp8_fp8 v[192:195], a[46:47], v[138:139], v[192:195]// 00000000B424: D3F300C0 0F03152E
	v_mfma_f32_16x16x32_fp8_fp8 v[196:199], a[44:45], v[156:157], v[196:199]// 00000000B42C: D3F300C4 0F13392C
	v_mfma_f32_16x16x32_fp8_fp8 v[196:199], a[46:47], v[158:159], v[196:199]// 00000000B434: D3F300C4 0F133D2E
	s_waitcnt vmcnt(33)                                        // 00000000B43C: BF8C8F71
	v_mfma_f32_16x16x32_fp8_fp8 v[168:171], a[48:49], v[140:141], v[168:171]// 00000000B440: D3F300A8 0EA31930
	buffer_load_dwordx4 a[128:131], v46, s[12:15], 0 offen     // 00000000B448: E05C1000 8083802E
	v_mfma_f32_16x16x32_fp8_fp8 v[168:171], a[50:51], v[142:143], v[168:171]// 00000000B450: D3F300A8 0EA31D32
	v_mfma_f32_16x16x32_fp8_fp8 v[172:175], a[48:49], v[160:161], v[172:175]// 00000000B458: D3F300AC 0EB34130
	v_mfma_f32_16x16x32_fp8_fp8 v[172:175], a[50:51], v[162:163], v[172:175]// 00000000B460: D3F300AC 0EB34532
	v_mfma_f32_16x16x32_fp8_fp8 v[176:179], a[52:53], v[140:141], v[176:179]// 00000000B468: D3F300B0 0EC31934
	buffer_load_dwordx4 a[132:135], v47, s[12:15], 0 offen     // 00000000B470: E05C1000 8083842F
	v_mfma_f32_16x16x32_fp8_fp8 v[176:179], a[54:55], v[142:143], v[176:179]// 00000000B478: D3F300B0 0EC31D36
	v_mfma_f32_16x16x32_fp8_fp8 v[180:183], a[52:53], v[160:161], v[180:183]// 00000000B480: D3F300B4 0ED34134
	v_mfma_f32_16x16x32_fp8_fp8 v[180:183], a[54:55], v[162:163], v[180:183]// 00000000B488: D3F300B4 0ED34536
	v_mfma_f32_16x16x32_fp8_fp8 v[184:187], a[56:57], v[140:141], v[184:187]// 00000000B490: D3F300B8 0EE31938
	buffer_load_dwordx4 a[136:139], v48, s[12:15], 0 offen     // 00000000B498: E05C1000 80838830
	v_mfma_f32_16x16x32_fp8_fp8 v[184:187], a[58:59], v[142:143], v[184:187]// 00000000B4A0: D3F300B8 0EE31D3A
	v_mfma_f32_16x16x32_fp8_fp8 v[188:191], a[56:57], v[160:161], v[188:191]// 00000000B4A8: D3F300BC 0EF34138
	v_mfma_f32_16x16x32_fp8_fp8 v[188:191], a[58:59], v[162:163], v[188:191]// 00000000B4B0: D3F300BC 0EF3453A
	v_mfma_f32_16x16x32_fp8_fp8 v[192:195], a[60:61], v[140:141], v[192:195]// 00000000B4B8: D3F300C0 0F03193C
	buffer_load_dwordx4 a[140:143], v49, s[12:15], 0 offen     // 00000000B4C0: E05C1000 80838C31
	s_add_u32 s12, s78, s12                                    // 00000000B4C8: 800C0C4E
	s_addc_u32 s13, 0, s13                                     // 00000000B4CC: 820D0D80
	v_mfma_f32_16x16x32_fp8_fp8 v[192:195], a[62:63], v[142:143], v[192:195]// 00000000B4D0: D3F300C0 0F031D3E
	v_mfma_f32_16x16x32_fp8_fp8 v[196:199], a[60:61], v[160:161], v[196:199]// 00000000B4D8: D3F300C4 0F13413C
	v_mfma_f32_16x16x32_fp8_fp8 v[196:199], a[62:63], v[162:163], v[196:199]// 00000000B4E0: D3F300C4 0F13453E
	s_waitcnt vmcnt(32)                                        // 00000000B4E8: BF8C8F70
	v_mfma_f32_16x16x32_fp8_fp8 v[168:171], a[64:65], v[144:145], v[168:171]// 00000000B4EC: D3F300A8 0EA32140
	buffer_load_dwordx4 a[144:147], v46, s[12:15], 0 offen     // 00000000B4F4: E05C1000 8083902E
	v_mfma_f32_16x16x32_fp8_fp8 v[168:171], a[66:67], v[146:147], v[168:171]// 00000000B4FC: D3F300A8 0EA32542
	v_mfma_f32_16x16x32_fp8_fp8 v[172:175], a[64:65], v[164:165], v[172:175]// 00000000B504: D3F300AC 0EB34940
	buffer_load_dword v13, v5, s[16:19], 0 offen               // 00000000B50C: E0501000 80040D05
	v_mfma_f32_16x16x32_fp8_fp8 v[172:175], a[66:67], v[166:167], v[172:175]// 00000000B514: D3F300AC 0EB34D42
	v_mfma_f32_16x16x32_fp8_fp8 v[176:179], a[68:69], v[144:145], v[176:179]// 00000000B51C: D3F300B0 0EC32144
	buffer_load_dwordx4 a[148:151], v47, s[12:15], 0 offen     // 00000000B524: E05C1000 8083942F
	v_mfma_f32_16x16x32_fp8_fp8 v[176:179], a[70:71], v[146:147], v[176:179]// 00000000B52C: D3F300B0 0EC32546
	v_mfma_f32_16x16x32_fp8_fp8 v[180:183], a[68:69], v[164:165], v[180:183]// 00000000B534: D3F300B4 0ED34944
	v_mfma_f32_16x16x32_fp8_fp8 v[180:183], a[70:71], v[166:167], v[180:183]// 00000000B53C: D3F300B4 0ED34D46
	v_mfma_f32_16x16x32_fp8_fp8 v[184:187], a[72:73], v[144:145], v[184:187]// 00000000B544: D3F300B8 0EE32148
	buffer_load_dwordx4 a[152:155], v48, s[12:15], 0 offen     // 00000000B54C: E05C1000 80839830
	v_mfma_f32_16x16x32_fp8_fp8 v[184:187], a[74:75], v[146:147], v[184:187]// 00000000B554: D3F300B8 0EE3254A
	v_mfma_f32_16x16x32_fp8_fp8 v[188:191], a[72:73], v[164:165], v[188:191]// 00000000B55C: D3F300BC 0EF34948
	v_mfma_f32_16x16x32_fp8_fp8 v[188:191], a[74:75], v[166:167], v[188:191]// 00000000B564: D3F300BC 0EF34D4A
	v_mfma_f32_16x16x32_fp8_fp8 v[192:195], a[76:77], v[144:145], v[192:195]// 00000000B56C: D3F300C0 0F03214C
	buffer_load_dwordx4 a[156:159], v49, s[12:15], 0 offen     // 00000000B574: E05C1000 80839C31
	v_mfma_f32_16x16x32_fp8_fp8 v[192:195], a[78:79], v[146:147], v[192:195]// 00000000B57C: D3F300C0 0F03254E
	v_mfma_f32_16x16x32_fp8_fp8 v[196:199], a[76:77], v[164:165], v[196:199]// 00000000B584: D3F300C4 0F13494C
	v_mfma_f32_16x16x32_fp8_fp8 v[196:199], a[78:79], v[166:167], v[196:199]// 00000000B58C: D3F300C4 0F134D4E
	s_add_u32 s60, 0x200, s80                                  // 00000000B594: 803C50FF 00000200
	s_cmp_lt_u32 s60, s81                                      // 00000000B59C: BF0A513C
	s_cselect_b32 s56, s56, 0                                  // 00000000B5A0: 85388038
	s_cselect_b32 s78, s78, 0                                  // 00000000B5A4: 854E804E
	s_cselect_b32 s79, s79, 0                                  // 00000000B5A8: 854F804F
	s_add_u32 s12, s56, s12                                    // 00000000B5AC: 800C0C38
	s_addc_u32 s13, 0, s13                                     // 00000000B5B0: 820D0D80
	s_add_u32 s16, s79, s16                                    // 00000000B5B4: 8010104F
	s_addc_u32 s17, 0, s17                                     // 00000000B5B8: 82111180
	v_mov_b32_e32 v42, v24                                     // 00000000B5BC: 7E540318
	v_mov_b32_e32 v44, v20                                     // 00000000B5C0: 7E580314
	v_mov_b32_e32 v43, v42                                     // 00000000B5C4: 7E56032A
	v_mov_b32_e32 v45, v44                                     // 00000000B5C8: 7E5A032C
	v_pk_mul_f32 v[168:169], v[42:43], v[168:169]              // 00000000B5CC: D3B140A8 1803512A
	v_pk_mul_f32 v[170:171], v[42:43], v[170:171]              // 00000000B5D4: D3B140AA 1803552A
	v_mul_f32_dpp v168, v12, v168 row_newbcast:0 row_mask:0xf bank_mask:0xf// 00000000B5DC: 0B5150FA FF01500C
	v_mul_f32_dpp v169, v12, v169 row_newbcast:1 row_mask:0xf bank_mask:0xf// 00000000B5E4: 0B5352FA FF01510C
	v_mul_f32_dpp v170, v12, v170 row_newbcast:2 row_mask:0xf bank_mask:0xf// 00000000B5EC: 0B5554FA FF01520C
	v_mul_f32_dpp v171, v12, v171 row_newbcast:3 row_mask:0xf bank_mask:0xf// 00000000B5F4: 0B5756FA FF01530C
	v_pk_mul_f32 v[168:169], v[44:45], v[168:169]              // 00000000B5FC: D3B140A8 1803512C
	v_pk_mul_f32 v[170:171], v[44:45], v[170:171]              // 00000000B604: D3B140AA 1803552C
	v_pk_mul_f32 v[176:177], v[42:43], v[176:177]              // 00000000B60C: D3B140B0 1803612A
	v_pk_mul_f32 v[178:179], v[42:43], v[178:179]              // 00000000B614: D3B140B2 1803652A
	v_mul_f32_dpp v176, v12, v176 row_newbcast:4 row_mask:0xf bank_mask:0xf// 00000000B61C: 0B6160FA FF01540C
	v_mul_f32_dpp v177, v12, v177 row_newbcast:5 row_mask:0xf bank_mask:0xf// 00000000B624: 0B6362FA FF01550C
	v_mul_f32_dpp v178, v12, v178 row_newbcast:6 row_mask:0xf bank_mask:0xf// 00000000B62C: 0B6564FA FF01560C
	v_mul_f32_dpp v179, v12, v179 row_newbcast:7 row_mask:0xf bank_mask:0xf// 00000000B634: 0B6766FA FF01570C
	v_pk_mul_f32 v[176:177], v[44:45], v[176:177]              // 00000000B63C: D3B140B0 1803612C
	v_pk_mul_f32 v[178:179], v[44:45], v[178:179]              // 00000000B644: D3B140B2 1803652C
	v_pk_mul_f32 v[184:185], v[42:43], v[184:185]              // 00000000B64C: D3B140B8 1803712A
	v_pk_mul_f32 v[186:187], v[42:43], v[186:187]              // 00000000B654: D3B140BA 1803752A
	v_mul_f32_dpp v184, v12, v184 row_newbcast:8 row_mask:0xf bank_mask:0xf// 00000000B65C: 0B7170FA FF01580C
	v_mul_f32_dpp v185, v12, v185 row_newbcast:9 row_mask:0xf bank_mask:0xf// 00000000B664: 0B7372FA FF01590C
	v_mul_f32_dpp v186, v12, v186 row_newbcast:10 row_mask:0xf bank_mask:0xf// 00000000B66C: 0B7574FA FF015A0C
	v_mul_f32_dpp v187, v12, v187 row_newbcast:11 row_mask:0xf bank_mask:0xf// 00000000B674: 0B7776FA FF015B0C
	v_pk_mul_f32 v[184:185], v[44:45], v[184:185]              // 00000000B67C: D3B140B8 1803712C
	v_pk_mul_f32 v[186:187], v[44:45], v[186:187]              // 00000000B684: D3B140BA 1803752C
	v_pk_mul_f32 v[192:193], v[42:43], v[192:193]              // 00000000B68C: D3B140C0 1803812A
	v_pk_mul_f32 v[194:195], v[42:43], v[194:195]              // 00000000B694: D3B140C2 1803852A
	v_mul_f32_dpp v192, v12, v192 row_newbcast:12 row_mask:0xf bank_mask:0xf// 00000000B69C: 0B8180FA FF015C0C
	v_mul_f32_dpp v193, v12, v193 row_newbcast:13 row_mask:0xf bank_mask:0xf// 00000000B6A4: 0B8382FA FF015D0C
	v_mul_f32_dpp v194, v12, v194 row_newbcast:14 row_mask:0xf bank_mask:0xf// 00000000B6AC: 0B8584FA FF015E0C
	v_mul_f32_dpp v195, v12, v195 row_newbcast:15 row_mask:0xf bank_mask:0xf// 00000000B6B4: 0B8786FA FF015F0C
	v_pk_mul_f32 v[192:193], v[44:45], v[192:193]              // 00000000B6BC: D3B140C0 1803812C
	v_pk_mul_f32 v[194:195], v[44:45], v[194:195]              // 00000000B6C4: D3B140C2 1803852C
	v_mov_b32_e32 v42, v25                                     // 00000000B6CC: 7E540319
	v_mov_b32_e32 v44, v21                                     // 00000000B6D0: 7E580315
	v_mov_b32_e32 v43, v42                                     // 00000000B6D4: 7E56032A
	v_mov_b32_e32 v45, v44                                     // 00000000B6D8: 7E5A032C
	v_pk_mul_f32 v[172:173], v[42:43], v[172:173]              // 00000000B6DC: D3B140AC 1803592A
	v_pk_mul_f32 v[174:175], v[42:43], v[174:175]              // 00000000B6E4: D3B140AE 18035D2A
	v_mul_f32_dpp v172, v12, v172 row_newbcast:0 row_mask:0xf bank_mask:0xf// 00000000B6EC: 0B5958FA FF01500C
	v_mul_f32_dpp v173, v12, v173 row_newbcast:1 row_mask:0xf bank_mask:0xf// 00000000B6F4: 0B5B5AFA FF01510C
	v_mul_f32_dpp v174, v12, v174 row_newbcast:2 row_mask:0xf bank_mask:0xf// 00000000B6FC: 0B5D5CFA FF01520C
	v_mul_f32_dpp v175, v12, v175 row_newbcast:3 row_mask:0xf bank_mask:0xf// 00000000B704: 0B5F5EFA FF01530C
	v_pk_mul_f32 v[172:173], v[44:45], v[172:173]              // 00000000B70C: D3B140AC 1803592C
	v_pk_mul_f32 v[174:175], v[44:45], v[174:175]              // 00000000B714: D3B140AE 18035D2C
	v_pk_mul_f32 v[180:181], v[42:43], v[180:181]              // 00000000B71C: D3B140B4 1803692A
	v_pk_mul_f32 v[182:183], v[42:43], v[182:183]              // 00000000B724: D3B140B6 18036D2A
	v_mul_f32_dpp v180, v12, v180 row_newbcast:4 row_mask:0xf bank_mask:0xf// 00000000B72C: 0B6968FA FF01540C
	v_mul_f32_dpp v181, v12, v181 row_newbcast:5 row_mask:0xf bank_mask:0xf// 00000000B734: 0B6B6AFA FF01550C
	v_mul_f32_dpp v182, v12, v182 row_newbcast:6 row_mask:0xf bank_mask:0xf// 00000000B73C: 0B6D6CFA FF01560C
	v_mul_f32_dpp v183, v12, v183 row_newbcast:7 row_mask:0xf bank_mask:0xf// 00000000B744: 0B6F6EFA FF01570C
	v_pk_mul_f32 v[180:181], v[44:45], v[180:181]              // 00000000B74C: D3B140B4 1803692C
	v_pk_mul_f32 v[182:183], v[44:45], v[182:183]              // 00000000B754: D3B140B6 18036D2C
	v_pk_mul_f32 v[188:189], v[42:43], v[188:189]              // 00000000B75C: D3B140BC 1803792A
	v_pk_mul_f32 v[190:191], v[42:43], v[190:191]              // 00000000B764: D3B140BE 18037D2A
	v_mul_f32_dpp v188, v12, v188 row_newbcast:8 row_mask:0xf bank_mask:0xf// 00000000B76C: 0B7978FA FF01580C
	v_mul_f32_dpp v189, v12, v189 row_newbcast:9 row_mask:0xf bank_mask:0xf// 00000000B774: 0B7B7AFA FF01590C
	v_mul_f32_dpp v190, v12, v190 row_newbcast:10 row_mask:0xf bank_mask:0xf// 00000000B77C: 0B7D7CFA FF015A0C
	v_mul_f32_dpp v191, v12, v191 row_newbcast:11 row_mask:0xf bank_mask:0xf// 00000000B784: 0B7F7EFA FF015B0C
	v_pk_mul_f32 v[188:189], v[44:45], v[188:189]              // 00000000B78C: D3B140BC 1803792C
	v_pk_mul_f32 v[190:191], v[44:45], v[190:191]              // 00000000B794: D3B140BE 18037D2C
	v_pk_mul_f32 v[196:197], v[42:43], v[196:197]              // 00000000B79C: D3B140C4 1803892A
	v_pk_mul_f32 v[198:199], v[42:43], v[198:199]              // 00000000B7A4: D3B140C6 18038D2A
	v_mul_f32_dpp v196, v12, v196 row_newbcast:12 row_mask:0xf bank_mask:0xf// 00000000B7AC: 0B8988FA FF015C0C
	v_mul_f32_dpp v197, v12, v197 row_newbcast:13 row_mask:0xf bank_mask:0xf// 00000000B7B4: 0B8B8AFA FF015D0C
	v_mul_f32_dpp v198, v12, v198 row_newbcast:14 row_mask:0xf bank_mask:0xf// 00000000B7BC: 0B8D8CFA FF015E0C
	v_mul_f32_dpp v199, v12, v199 row_newbcast:15 row_mask:0xf bank_mask:0xf// 00000000B7C4: 0B8F8EFA FF015F0C
	v_pk_mul_f32 v[196:197], v[44:45], v[196:197]              // 00000000B7CC: D3B140C4 1803892C
	v_pk_mul_f32 v[198:199], v[44:45], v[198:199]              // 00000000B7D4: D3B140C6 18038D2C
	v_cmp_u_f32_e64 s[48:49], v168, v168                       // 00000000B7DC: D0480030 000351A8
	v_add3_u32 v50, v168, v53, 1                               // 00000000B7E4: D1FF0032 02066BA8
	v_cndmask_b32_e64 v42, v50, v52, s[48:49]                  // 00000000B7EC: D100002A 00C26932
	v_cmp_u_f32_e64 s[48:49], v169, v169                       // 00000000B7F4: D0480030 000353A9
	v_add3_u32 v50, v169, v53, 1                               // 00000000B7FC: D1FF0032 02066BA9
	v_cndmask_b32_e64 v43, v50, v52, s[48:49]                  // 00000000B804: D100002B 00C26932
	v_perm_b32 v168, v43, v42, s52                             // 00000000B80C: D1ED00A8 00D2552B
	v_cmp_u_f32_e64 s[48:49], v170, v170                       // 00000000B814: D0480030 000355AA
	v_add3_u32 v50, v170, v53, 1                               // 00000000B81C: D1FF0032 02066BAA
	v_cndmask_b32_e64 v42, v50, v52, s[48:49]                  // 00000000B824: D100002A 00C26932
	v_cmp_u_f32_e64 s[48:49], v171, v171                       // 00000000B82C: D0480030 000357AB
	v_add3_u32 v50, v171, v53, 1                               // 00000000B834: D1FF0032 02066BAB
	v_cndmask_b32_e64 v43, v50, v52, s[48:49]                  // 00000000B83C: D100002B 00C26932
	v_perm_b32 v169, v43, v42, s52                             // 00000000B844: D1ED00A9 00D2552B
	v_cmp_u_f32_e64 s[48:49], v172, v172                       // 00000000B84C: D0480030 000359AC
	v_add3_u32 v50, v172, v53, 1                               // 00000000B854: D1FF0032 02066BAC
	v_cndmask_b32_e64 v42, v50, v52, s[48:49]                  // 00000000B85C: D100002A 00C26932
	v_cmp_u_f32_e64 s[48:49], v173, v173                       // 00000000B864: D0480030 00035BAD
	v_add3_u32 v50, v173, v53, 1                               // 00000000B86C: D1FF0032 02066BAD
	v_cndmask_b32_e64 v43, v50, v52, s[48:49]                  // 00000000B874: D100002B 00C26932
	v_perm_b32 v170, v43, v42, s52                             // 00000000B87C: D1ED00AA 00D2552B
	v_cmp_u_f32_e64 s[48:49], v174, v174                       // 00000000B884: D0480030 00035DAE
	v_add3_u32 v50, v174, v53, 1                               // 00000000B88C: D1FF0032 02066BAE
	v_cndmask_b32_e64 v42, v50, v52, s[48:49]                  // 00000000B894: D100002A 00C26932
	v_cmp_u_f32_e64 s[48:49], v175, v175                       // 00000000B89C: D0480030 00035FAF
	v_add3_u32 v50, v175, v53, 1                               // 00000000B8A4: D1FF0032 02066BAF
	v_cndmask_b32_e64 v43, v50, v52, s[48:49]                  // 00000000B8AC: D100002B 00C26932
	v_perm_b32 v171, v43, v42, s52                             // 00000000B8B4: D1ED00AB 00D2552B
	v_cmp_u_f32_e64 s[48:49], v176, v176                       // 00000000B8BC: D0480030 000361B0
	v_add3_u32 v50, v176, v53, 1                               // 00000000B8C4: D1FF0032 02066BB0
	v_cndmask_b32_e64 v42, v50, v52, s[48:49]                  // 00000000B8CC: D100002A 00C26932
	v_cmp_u_f32_e64 s[48:49], v177, v177                       // 00000000B8D4: D0480030 000363B1
	v_add3_u32 v50, v177, v53, 1                               // 00000000B8DC: D1FF0032 02066BB1
	v_cndmask_b32_e64 v43, v50, v52, s[48:49]                  // 00000000B8E4: D100002B 00C26932
	v_perm_b32 v172, v43, v42, s52                             // 00000000B8EC: D1ED00AC 00D2552B
	v_cmp_u_f32_e64 s[48:49], v178, v178                       // 00000000B8F4: D0480030 000365B2
	v_add3_u32 v50, v178, v53, 1                               // 00000000B8FC: D1FF0032 02066BB2
	v_cndmask_b32_e64 v42, v50, v52, s[48:49]                  // 00000000B904: D100002A 00C26932
	v_cmp_u_f32_e64 s[48:49], v179, v179                       // 00000000B90C: D0480030 000367B3
	v_add3_u32 v50, v179, v53, 1                               // 00000000B914: D1FF0032 02066BB3
	v_cndmask_b32_e64 v43, v50, v52, s[48:49]                  // 00000000B91C: D100002B 00C26932
	v_perm_b32 v173, v43, v42, s52                             // 00000000B924: D1ED00AD 00D2552B
	v_cmp_u_f32_e64 s[48:49], v180, v180                       // 00000000B92C: D0480030 000369B4
	v_add3_u32 v50, v180, v53, 1                               // 00000000B934: D1FF0032 02066BB4
	v_cndmask_b32_e64 v42, v50, v52, s[48:49]                  // 00000000B93C: D100002A 00C26932
	v_cmp_u_f32_e64 s[48:49], v181, v181                       // 00000000B944: D0480030 00036BB5
	v_add3_u32 v50, v181, v53, 1                               // 00000000B94C: D1FF0032 02066BB5
	v_cndmask_b32_e64 v43, v50, v52, s[48:49]                  // 00000000B954: D100002B 00C26932
	v_perm_b32 v174, v43, v42, s52                             // 00000000B95C: D1ED00AE 00D2552B
	v_cmp_u_f32_e64 s[48:49], v182, v182                       // 00000000B964: D0480030 00036DB6
	v_add3_u32 v50, v182, v53, 1                               // 00000000B96C: D1FF0032 02066BB6
	v_cndmask_b32_e64 v42, v50, v52, s[48:49]                  // 00000000B974: D100002A 00C26932
	v_cmp_u_f32_e64 s[48:49], v183, v183                       // 00000000B97C: D0480030 00036FB7
	v_add3_u32 v50, v183, v53, 1                               // 00000000B984: D1FF0032 02066BB7
	v_cndmask_b32_e64 v43, v50, v52, s[48:49]                  // 00000000B98C: D100002B 00C26932
	v_perm_b32 v175, v43, v42, s52                             // 00000000B994: D1ED00AF 00D2552B
	v_cmp_u_f32_e64 s[48:49], v184, v184                       // 00000000B99C: D0480030 000371B8
	v_add3_u32 v50, v184, v53, 1                               // 00000000B9A4: D1FF0032 02066BB8
	v_cndmask_b32_e64 v42, v50, v52, s[48:49]                  // 00000000B9AC: D100002A 00C26932
	v_cmp_u_f32_e64 s[48:49], v185, v185                       // 00000000B9B4: D0480030 000373B9
	v_add3_u32 v50, v185, v53, 1                               // 00000000B9BC: D1FF0032 02066BB9
	v_cndmask_b32_e64 v43, v50, v52, s[48:49]                  // 00000000B9C4: D100002B 00C26932
	v_perm_b32 v176, v43, v42, s52                             // 00000000B9CC: D1ED00B0 00D2552B
	v_cmp_u_f32_e64 s[48:49], v186, v186                       // 00000000B9D4: D0480030 000375BA
	v_add3_u32 v50, v186, v53, 1                               // 00000000B9DC: D1FF0032 02066BBA
	v_cndmask_b32_e64 v42, v50, v52, s[48:49]                  // 00000000B9E4: D100002A 00C26932
	v_cmp_u_f32_e64 s[48:49], v187, v187                       // 00000000B9EC: D0480030 000377BB
	v_add3_u32 v50, v187, v53, 1                               // 00000000B9F4: D1FF0032 02066BBB
	v_cndmask_b32_e64 v43, v50, v52, s[48:49]                  // 00000000B9FC: D100002B 00C26932
	v_perm_b32 v177, v43, v42, s52                             // 00000000BA04: D1ED00B1 00D2552B
	v_cmp_u_f32_e64 s[48:49], v188, v188                       // 00000000BA0C: D0480030 000379BC
	v_add3_u32 v50, v188, v53, 1                               // 00000000BA14: D1FF0032 02066BBC
	v_cndmask_b32_e64 v42, v50, v52, s[48:49]                  // 00000000BA1C: D100002A 00C26932
	v_cmp_u_f32_e64 s[48:49], v189, v189                       // 00000000BA24: D0480030 00037BBD
	v_add3_u32 v50, v189, v53, 1                               // 00000000BA2C: D1FF0032 02066BBD
	v_cndmask_b32_e64 v43, v50, v52, s[48:49]                  // 00000000BA34: D100002B 00C26932
	v_perm_b32 v178, v43, v42, s52                             // 00000000BA3C: D1ED00B2 00D2552B
	v_cmp_u_f32_e64 s[48:49], v190, v190                       // 00000000BA44: D0480030 00037DBE
	v_add3_u32 v50, v190, v53, 1                               // 00000000BA4C: D1FF0032 02066BBE
	v_cndmask_b32_e64 v42, v50, v52, s[48:49]                  // 00000000BA54: D100002A 00C26932
	v_cmp_u_f32_e64 s[48:49], v191, v191                       // 00000000BA5C: D0480030 00037FBF
	v_add3_u32 v50, v191, v53, 1                               // 00000000BA64: D1FF0032 02066BBF
	v_cndmask_b32_e64 v43, v50, v52, s[48:49]                  // 00000000BA6C: D100002B 00C26932
	v_perm_b32 v179, v43, v42, s52                             // 00000000BA74: D1ED00B3 00D2552B
	v_cmp_u_f32_e64 s[48:49], v192, v192                       // 00000000BA7C: D0480030 000381C0
	v_add3_u32 v50, v192, v53, 1                               // 00000000BA84: D1FF0032 02066BC0
	v_cndmask_b32_e64 v42, v50, v52, s[48:49]                  // 00000000BA8C: D100002A 00C26932
	v_cmp_u_f32_e64 s[48:49], v193, v193                       // 00000000BA94: D0480030 000383C1
	v_add3_u32 v50, v193, v53, 1                               // 00000000BA9C: D1FF0032 02066BC1
	v_cndmask_b32_e64 v43, v50, v52, s[48:49]                  // 00000000BAA4: D100002B 00C26932
	v_perm_b32 v180, v43, v42, s52                             // 00000000BAAC: D1ED00B4 00D2552B
	v_cmp_u_f32_e64 s[48:49], v194, v194                       // 00000000BAB4: D0480030 000385C2
	v_add3_u32 v50, v194, v53, 1                               // 00000000BABC: D1FF0032 02066BC2
	v_cndmask_b32_e64 v42, v50, v52, s[48:49]                  // 00000000BAC4: D100002A 00C26932
	v_cmp_u_f32_e64 s[48:49], v195, v195                       // 00000000BACC: D0480030 000387C3
	v_add3_u32 v50, v195, v53, 1                               // 00000000BAD4: D1FF0032 02066BC3
	v_cndmask_b32_e64 v43, v50, v52, s[48:49]                  // 00000000BADC: D100002B 00C26932
	v_perm_b32 v181, v43, v42, s52                             // 00000000BAE4: D1ED00B5 00D2552B
	v_cmp_u_f32_e64 s[48:49], v196, v196                       // 00000000BAEC: D0480030 000389C4
	v_add3_u32 v50, v196, v53, 1                               // 00000000BAF4: D1FF0032 02066BC4
	v_cndmask_b32_e64 v42, v50, v52, s[48:49]                  // 00000000BAFC: D100002A 00C26932
	v_cmp_u_f32_e64 s[48:49], v197, v197                       // 00000000BB04: D0480030 00038BC5
	v_add3_u32 v50, v197, v53, 1                               // 00000000BB0C: D1FF0032 02066BC5
	v_cndmask_b32_e64 v43, v50, v52, s[48:49]                  // 00000000BB14: D100002B 00C26932
	v_perm_b32 v182, v43, v42, s52                             // 00000000BB1C: D1ED00B6 00D2552B
	v_cmp_u_f32_e64 s[48:49], v198, v198                       // 00000000BB24: D0480030 00038DC6
	v_add3_u32 v50, v198, v53, 1                               // 00000000BB2C: D1FF0032 02066BC6
	v_cndmask_b32_e64 v42, v50, v52, s[48:49]                  // 00000000BB34: D100002A 00C26932
	v_cmp_u_f32_e64 s[48:49], v199, v199                       // 00000000BB3C: D0480030 00038FC7
	v_add3_u32 v50, v199, v53, 1                               // 00000000BB44: D1FF0032 02066BC7
	v_cndmask_b32_e64 v43, v50, v52, s[48:49]                  // 00000000BB4C: D100002B 00C26932
	v_perm_b32 v183, v43, v42, s52                             // 00000000BB54: D1ED00B7 00D2552B
	ds_write_b64 v3, v[168:169] offset:2048                    // 00000000BB5C: D89A0800 0000A803
	ds_write_b64 v3, v[170:171] offset:10752                   // 00000000BB64: D89A2A00 0000AA03
	ds_write_b64 v3, v[172:173] offset:4224                    // 00000000BB6C: D89A1080 0000AC03
	ds_write_b64 v3, v[174:175] offset:12928                   // 00000000BB74: D89A3280 0000AE03
	ds_write_b64 v3, v[176:177] offset:6400                    // 00000000BB7C: D89A1900 0000B003
	ds_write_b64 v3, v[178:179] offset:15104                   // 00000000BB84: D89A3B00 0000B203
	ds_write_b64 v3, v[180:181] offset:8576                    // 00000000BB8C: D89A2180 0000B403
	ds_write_b64 v3, v[182:183] offset:17280                   // 00000000BB94: D89A4380 0000B603
	s_waitcnt lgkmcnt(0)                                       // 00000000BB9C: BF8CC07F
	s_barrier                                                  // 00000000BBA0: BF8A0000
	ds_read_b32 v64, v4 offset:2048                            // 00000000BBA4: D86C0800 40000004
	ds_read_b32 v65, v4 offset:6400                            // 00000000BBAC: D86C1900 41000004
	ds_read_b32 v66, v4 offset:2080                            // 00000000BBB4: D86C0820 42000004
	ds_read_b32 v67, v4 offset:6432                            // 00000000BBBC: D86C1920 43000004
	ds_read_b32 v68, v4 offset:2112                            // 00000000BBC4: D86C0840 44000004
	ds_read_b32 v69, v4 offset:6464                            // 00000000BBCC: D86C1940 45000004
	ds_read_b32 v70, v4 offset:2144                            // 00000000BBD4: D86C0860 46000004
	ds_read_b32 v71, v4 offset:6496                            // 00000000BBDC: D86C1960 47000004
	ds_read_b32 v72, v4 offset:10752                           // 00000000BBE4: D86C2A00 48000004
	ds_read_b32 v73, v4 offset:15104                           // 00000000BBEC: D86C3B00 49000004
	ds_read_b32 v74, v4 offset:10784                           // 00000000BBF4: D86C2A20 4A000004
	ds_read_b32 v75, v4 offset:15136                           // 00000000BBFC: D86C3B20 4B000004
	ds_read_b32 v76, v4 offset:10816                           // 00000000BC04: D86C2A40 4C000004
	ds_read_b32 v77, v4 offset:15168                           // 00000000BC0C: D86C3B40 4D000004
	ds_read_b32 v78, v4 offset:10848                           // 00000000BC14: D86C2A60 4E000004
	ds_read_b32 v79, v4 offset:15200                           // 00000000BC1C: D86C3B60 4F000004
	s_waitcnt lgkmcnt(0)                                       // 00000000BC24: BF8CC07F
	s_mov_b64 exec, s[20:21]                                   // 00000000BC28: BEFE0114
	global_atomic_pk_add_bf16 v80, v64, s[8:9]                 // 00000000BC2C: DD488000 00084050
	s_mov_b64 exec, s[36:37]                                   // 00000000BC34: BEFE0124
	s_mov_b64 exec, s[20:21]                                   // 00000000BC38: BEFE0114
	global_atomic_pk_add_bf16 v80, v65, s[8:9] offset:256      // 00000000BC3C: DD488100 00084150
	s_mov_b64 exec, s[36:37]                                   // 00000000BC44: BEFE0124
	s_mov_b64 exec, s[22:23]                                   // 00000000BC48: BEFE0116
	global_atomic_pk_add_bf16 v82, v66, s[8:9]                 // 00000000BC4C: DD488000 00084252
	s_mov_b64 exec, s[36:37]                                   // 00000000BC54: BEFE0124
	s_mov_b64 exec, s[22:23]                                   // 00000000BC58: BEFE0116
	global_atomic_pk_add_bf16 v82, v67, s[8:9] offset:256      // 00000000BC5C: DD488100 00084352
	s_mov_b64 exec, s[36:37]                                   // 00000000BC64: BEFE0124
	s_mov_b64 exec, s[24:25]                                   // 00000000BC68: BEFE0118
	global_atomic_pk_add_bf16 v84, v68, s[8:9]                 // 00000000BC6C: DD488000 00084454
	s_mov_b64 exec, s[36:37]                                   // 00000000BC74: BEFE0124
	s_mov_b64 exec, s[24:25]                                   // 00000000BC78: BEFE0118
	global_atomic_pk_add_bf16 v84, v69, s[8:9] offset:256      // 00000000BC7C: DD488100 00084554
	s_mov_b64 exec, s[36:37]                                   // 00000000BC84: BEFE0124
	s_mov_b64 exec, s[26:27]                                   // 00000000BC88: BEFE011A
	global_atomic_pk_add_bf16 v86, v70, s[8:9]                 // 00000000BC8C: DD488000 00084656
	s_mov_b64 exec, s[36:37]                                   // 00000000BC94: BEFE0124
	s_mov_b64 exec, s[26:27]                                   // 00000000BC98: BEFE011A
	global_atomic_pk_add_bf16 v86, v71, s[8:9] offset:256      // 00000000BC9C: DD488100 00084756
	s_mov_b64 exec, s[36:37]                                   // 00000000BCA4: BEFE0124
	s_mov_b64 exec, s[28:29]                                   // 00000000BCA8: BEFE011C
	global_atomic_pk_add_bf16 v88, v72, s[8:9]                 // 00000000BCAC: DD488000 00084858
	s_mov_b64 exec, s[36:37]                                   // 00000000BCB4: BEFE0124
	s_mov_b64 exec, s[28:29]                                   // 00000000BCB8: BEFE011C
	global_atomic_pk_add_bf16 v88, v73, s[8:9] offset:256      // 00000000BCBC: DD488100 00084958
	s_mov_b64 exec, s[36:37]                                   // 00000000BCC4: BEFE0124
	s_mov_b64 exec, s[30:31]                                   // 00000000BCC8: BEFE011E
	global_atomic_pk_add_bf16 v90, v74, s[8:9]                 // 00000000BCCC: DD488000 00084A5A
	s_mov_b64 exec, s[36:37]                                   // 00000000BCD4: BEFE0124
	s_mov_b64 exec, s[30:31]                                   // 00000000BCD8: BEFE011E
	global_atomic_pk_add_bf16 v90, v75, s[8:9] offset:256      // 00000000BCDC: DD488100 00084B5A
	s_mov_b64 exec, s[36:37]                                   // 00000000BCE4: BEFE0124
	s_mov_b64 exec, s[32:33]                                   // 00000000BCE8: BEFE0120
	global_atomic_pk_add_bf16 v92, v76, s[8:9]                 // 00000000BCEC: DD488000 00084C5C
	s_mov_b64 exec, s[36:37]                                   // 00000000BCF4: BEFE0124
	s_mov_b64 exec, s[32:33]                                   // 00000000BCF8: BEFE0120
	global_atomic_pk_add_bf16 v92, v77, s[8:9] offset:256      // 00000000BCFC: DD488100 00084D5C
	s_mov_b64 exec, s[36:37]                                   // 00000000BD04: BEFE0124
	s_mov_b64 exec, s[34:35]                                   // 00000000BD08: BEFE0122
	global_atomic_pk_add_bf16 v94, v78, s[8:9]                 // 00000000BD0C: DD488000 00084E5E
	s_mov_b64 exec, s[36:37]                                   // 00000000BD14: BEFE0124
	s_mov_b64 exec, s[34:35]                                   // 00000000BD18: BEFE0122
	global_atomic_pk_add_bf16 v94, v79, s[8:9] offset:256      // 00000000BD1C: DD488100 00084F5E
	s_mov_b64 exec, s[36:37]                                   // 00000000BD24: BEFE0124
	s_add_u32 s8, s59, s8                                      // 00000000BD28: 8008083B
	s_addc_u32 s9, 0, s9                                       // 00000000BD2C: 82090980
	s_addk_i32 s80, 0x100                                      // 00000000BD30: B7500100
	s_cmp_lt_i32 s80, s81                                      // 00000000BD34: BF045150
	s_cbranch_scc0 label_152A                                  // 00000000BD38: BF84F15B
	s_waitcnt vmcnt(33)                                        // 00000000BD3C: BF8C8F71
	s_barrier                                                  // 00000000BD40: BF8A0000
	v_mfma_f32_16x16x32_fp8_fp8 v[200:203], a[80:81], v[128:129], 0// 00000000BD44: D3F300C8 0A030150
	buffer_load_dwordx4 a[0:3], v46, s[12:15], 0 offen         // 00000000BD4C: E05C1000 8083002E
	v_mfma_f32_16x16x32_fp8_fp8 v[200:203], a[82:83], v[130:131], v[200:203]// 00000000BD54: D3F300C8 0F230552
	v_mfma_f32_16x16x32_fp8_fp8 v[204:207], a[80:81], v[148:149], 0// 00000000BD5C: D3F300CC 0A032950
	v_mfma_f32_16x16x32_fp8_fp8 v[204:207], a[82:83], v[150:151], v[204:207]// 00000000BD64: D3F300CC 0F332D52
	v_mfma_f32_16x16x32_fp8_fp8 v[208:211], a[84:85], v[128:129], 0// 00000000BD6C: D3F300D0 0A030154
	buffer_load_dwordx4 a[4:7], v47, s[12:15], 0 offen         // 00000000BD74: E05C1000 8083042F
	v_mfma_f32_16x16x32_fp8_fp8 v[208:211], a[86:87], v[130:131], v[208:211]// 00000000BD7C: D3F300D0 0F430556
	v_mfma_f32_16x16x32_fp8_fp8 v[212:215], a[84:85], v[148:149], 0// 00000000BD84: D3F300D4 0A032954
	v_mfma_f32_16x16x32_fp8_fp8 v[212:215], a[86:87], v[150:151], v[212:215]// 00000000BD8C: D3F300D4 0F532D56
	v_mfma_f32_16x16x32_fp8_fp8 v[216:219], a[88:89], v[128:129], 0// 00000000BD94: D3F300D8 0A030158
	buffer_load_dwordx4 a[8:11], v48, s[12:15], 0 offen        // 00000000BD9C: E05C1000 80830830
	v_mfma_f32_16x16x32_fp8_fp8 v[216:219], a[90:91], v[130:131], v[216:219]// 00000000BDA4: D3F300D8 0F63055A
	v_mfma_f32_16x16x32_fp8_fp8 v[220:223], a[88:89], v[148:149], 0// 00000000BDAC: D3F300DC 0A032958
	v_mfma_f32_16x16x32_fp8_fp8 v[220:223], a[90:91], v[150:151], v[220:223]// 00000000BDB4: D3F300DC 0F732D5A
	v_mfma_f32_16x16x32_fp8_fp8 v[224:227], a[92:93], v[128:129], 0// 00000000BDBC: D3F300E0 0A03015C
	buffer_load_dwordx4 a[12:15], v49, s[12:15], 0 offen       // 00000000BDC4: E05C1000 80830C31
	s_add_u32 s12, s78, s12                                    // 00000000BDCC: 800C0C4E
	s_addc_u32 s13, 0, s13                                     // 00000000BDD0: 820D0D80
	v_mfma_f32_16x16x32_fp8_fp8 v[224:227], a[94:95], v[130:131], v[224:227]// 00000000BDD4: D3F300E0 0F83055E
	v_mfma_f32_16x16x32_fp8_fp8 v[228:231], a[92:93], v[148:149], 0// 00000000BDDC: D3F300E4 0A03295C
	v_mfma_f32_16x16x32_fp8_fp8 v[228:231], a[94:95], v[150:151], v[228:231]// 00000000BDE4: D3F300E4 0F932D5E
	s_waitcnt vmcnt(33)                                        // 00000000BDEC: BF8C8F71
	v_mfma_f32_16x16x32_fp8_fp8 v[200:203], a[96:97], v[132:133], v[200:203]// 00000000BDF0: D3F300C8 0F230960
	buffer_load_dwordx4 a[16:19], v46, s[12:15], 0 offen       // 00000000BDF8: E05C1000 8083102E
	v_mfma_f32_16x16x32_fp8_fp8 v[200:203], a[98:99], v[134:135], v[200:203]// 00000000BE00: D3F300C8 0F230D62
	v_mfma_f32_16x16x32_fp8_fp8 v[204:207], a[96:97], v[152:153], v[204:207]// 00000000BE08: D3F300CC 0F333160
	v_mfma_f32_16x16x32_fp8_fp8 v[204:207], a[98:99], v[154:155], v[204:207]// 00000000BE10: D3F300CC 0F333562
	v_mfma_f32_16x16x32_fp8_fp8 v[208:211], a[100:101], v[132:133], v[208:211]// 00000000BE18: D3F300D0 0F430964
	buffer_load_dwordx4 a[20:23], v47, s[12:15], 0 offen       // 00000000BE20: E05C1000 8083142F
	v_mfma_f32_16x16x32_fp8_fp8 v[208:211], a[102:103], v[134:135], v[208:211]// 00000000BE28: D3F300D0 0F430D66
	v_mfma_f32_16x16x32_fp8_fp8 v[212:215], a[100:101], v[152:153], v[212:215]// 00000000BE30: D3F300D4 0F533164
	v_mfma_f32_16x16x32_fp8_fp8 v[212:215], a[102:103], v[154:155], v[212:215]// 00000000BE38: D3F300D4 0F533566
	v_mfma_f32_16x16x32_fp8_fp8 v[216:219], a[104:105], v[132:133], v[216:219]// 00000000BE40: D3F300D8 0F630968
	buffer_load_dwordx4 a[24:27], v48, s[12:15], 0 offen       // 00000000BE48: E05C1000 80831830
	v_mfma_f32_16x16x32_fp8_fp8 v[216:219], a[106:107], v[134:135], v[216:219]// 00000000BE50: D3F300D8 0F630D6A
	v_mfma_f32_16x16x32_fp8_fp8 v[220:223], a[104:105], v[152:153], v[220:223]// 00000000BE58: D3F300DC 0F733168
	v_mfma_f32_16x16x32_fp8_fp8 v[220:223], a[106:107], v[154:155], v[220:223]// 00000000BE60: D3F300DC 0F73356A
	v_mfma_f32_16x16x32_fp8_fp8 v[224:227], a[108:109], v[132:133], v[224:227]// 00000000BE68: D3F300E0 0F83096C
	buffer_load_dwordx4 a[28:31], v49, s[12:15], 0 offen       // 00000000BE70: E05C1000 80831C31
	s_add_u32 s12, s78, s12                                    // 00000000BE78: 800C0C4E
	s_addc_u32 s13, 0, s13                                     // 00000000BE7C: 820D0D80
	v_mfma_f32_16x16x32_fp8_fp8 v[224:227], a[110:111], v[134:135], v[224:227]// 00000000BE80: D3F300E0 0F830D6E
	v_mfma_f32_16x16x32_fp8_fp8 v[228:231], a[108:109], v[152:153], v[228:231]// 00000000BE88: D3F300E4 0F93316C
	v_mfma_f32_16x16x32_fp8_fp8 v[228:231], a[110:111], v[154:155], v[228:231]// 00000000BE90: D3F300E4 0F93356E
	s_waitcnt vmcnt(33)                                        // 00000000BE98: BF8C8F71
	v_mfma_f32_16x16x32_fp8_fp8 v[200:203], a[112:113], v[136:137], v[200:203]// 00000000BE9C: D3F300C8 0F231170
	buffer_load_dwordx4 a[32:35], v46, s[12:15], 0 offen       // 00000000BEA4: E05C1000 8083202E
	v_mfma_f32_16x16x32_fp8_fp8 v[200:203], a[114:115], v[138:139], v[200:203]// 00000000BEAC: D3F300C8 0F231572
	v_mfma_f32_16x16x32_fp8_fp8 v[204:207], a[112:113], v[156:157], v[204:207]// 00000000BEB4: D3F300CC 0F333970
	v_mfma_f32_16x16x32_fp8_fp8 v[204:207], a[114:115], v[158:159], v[204:207]// 00000000BEBC: D3F300CC 0F333D72
	v_mfma_f32_16x16x32_fp8_fp8 v[208:211], a[116:117], v[136:137], v[208:211]// 00000000BEC4: D3F300D0 0F431174
	buffer_load_dwordx4 a[36:39], v47, s[12:15], 0 offen       // 00000000BECC: E05C1000 8083242F
	v_mfma_f32_16x16x32_fp8_fp8 v[208:211], a[118:119], v[138:139], v[208:211]// 00000000BED4: D3F300D0 0F431576
	v_mfma_f32_16x16x32_fp8_fp8 v[212:215], a[116:117], v[156:157], v[212:215]// 00000000BEDC: D3F300D4 0F533974
	v_mfma_f32_16x16x32_fp8_fp8 v[212:215], a[118:119], v[158:159], v[212:215]// 00000000BEE4: D3F300D4 0F533D76
	v_mfma_f32_16x16x32_fp8_fp8 v[216:219], a[120:121], v[136:137], v[216:219]// 00000000BEEC: D3F300D8 0F631178
	buffer_load_dwordx4 a[40:43], v48, s[12:15], 0 offen       // 00000000BEF4: E05C1000 80832830
	v_mfma_f32_16x16x32_fp8_fp8 v[216:219], a[122:123], v[138:139], v[216:219]// 00000000BEFC: D3F300D8 0F63157A
	v_mfma_f32_16x16x32_fp8_fp8 v[220:223], a[120:121], v[156:157], v[220:223]// 00000000BF04: D3F300DC 0F733978
	v_mfma_f32_16x16x32_fp8_fp8 v[220:223], a[122:123], v[158:159], v[220:223]// 00000000BF0C: D3F300DC 0F733D7A
	v_mfma_f32_16x16x32_fp8_fp8 v[224:227], a[124:125], v[136:137], v[224:227]// 00000000BF14: D3F300E0 0F83117C
	buffer_load_dwordx4 a[44:47], v49, s[12:15], 0 offen       // 00000000BF1C: E05C1000 80832C31
	s_add_u32 s12, s78, s12                                    // 00000000BF24: 800C0C4E
	s_addc_u32 s13, 0, s13                                     // 00000000BF28: 820D0D80
	v_mfma_f32_16x16x32_fp8_fp8 v[224:227], a[126:127], v[138:139], v[224:227]// 00000000BF2C: D3F300E0 0F83157E
	v_mfma_f32_16x16x32_fp8_fp8 v[228:231], a[124:125], v[156:157], v[228:231]// 00000000BF34: D3F300E4 0F93397C
	v_mfma_f32_16x16x32_fp8_fp8 v[228:231], a[126:127], v[158:159], v[228:231]// 00000000BF3C: D3F300E4 0F933D7E
	s_waitcnt vmcnt(33)                                        // 00000000BF44: BF8C8F71
	v_mfma_f32_16x16x32_fp8_fp8 v[200:203], a[128:129], v[140:141], v[200:203]// 00000000BF48: D3F300C8 0F231980
	buffer_load_dwordx4 a[48:51], v46, s[12:15], 0 offen       // 00000000BF50: E05C1000 8083302E
	v_mfma_f32_16x16x32_fp8_fp8 v[200:203], a[130:131], v[142:143], v[200:203]// 00000000BF58: D3F300C8 0F231D82
	v_mfma_f32_16x16x32_fp8_fp8 v[204:207], a[128:129], v[160:161], v[204:207]// 00000000BF60: D3F300CC 0F334180
	v_mfma_f32_16x16x32_fp8_fp8 v[204:207], a[130:131], v[162:163], v[204:207]// 00000000BF68: D3F300CC 0F334582
	v_mfma_f32_16x16x32_fp8_fp8 v[208:211], a[132:133], v[140:141], v[208:211]// 00000000BF70: D3F300D0 0F431984
	buffer_load_dwordx4 a[52:55], v47, s[12:15], 0 offen       // 00000000BF78: E05C1000 8083342F
	v_mfma_f32_16x16x32_fp8_fp8 v[208:211], a[134:135], v[142:143], v[208:211]// 00000000BF80: D3F300D0 0F431D86
	v_mfma_f32_16x16x32_fp8_fp8 v[212:215], a[132:133], v[160:161], v[212:215]// 00000000BF88: D3F300D4 0F534184
	v_mfma_f32_16x16x32_fp8_fp8 v[212:215], a[134:135], v[162:163], v[212:215]// 00000000BF90: D3F300D4 0F534586
	v_mfma_f32_16x16x32_fp8_fp8 v[216:219], a[136:137], v[140:141], v[216:219]// 00000000BF98: D3F300D8 0F631988
	buffer_load_dwordx4 a[56:59], v48, s[12:15], 0 offen       // 00000000BFA0: E05C1000 80833830
	v_mfma_f32_16x16x32_fp8_fp8 v[216:219], a[138:139], v[142:143], v[216:219]// 00000000BFA8: D3F300D8 0F631D8A
	v_mfma_f32_16x16x32_fp8_fp8 v[220:223], a[136:137], v[160:161], v[220:223]// 00000000BFB0: D3F300DC 0F734188
	v_mfma_f32_16x16x32_fp8_fp8 v[220:223], a[138:139], v[162:163], v[220:223]// 00000000BFB8: D3F300DC 0F73458A
	v_mfma_f32_16x16x32_fp8_fp8 v[224:227], a[140:141], v[140:141], v[224:227]// 00000000BFC0: D3F300E0 0F83198C
	buffer_load_dwordx4 a[60:63], v49, s[12:15], 0 offen       // 00000000BFC8: E05C1000 80833C31
	s_add_u32 s12, s78, s12                                    // 00000000BFD0: 800C0C4E
	s_addc_u32 s13, 0, s13                                     // 00000000BFD4: 820D0D80
	v_mfma_f32_16x16x32_fp8_fp8 v[224:227], a[142:143], v[142:143], v[224:227]// 00000000BFD8: D3F300E0 0F831D8E
	v_mfma_f32_16x16x32_fp8_fp8 v[228:231], a[140:141], v[160:161], v[228:231]// 00000000BFE0: D3F300E4 0F93418C
	v_mfma_f32_16x16x32_fp8_fp8 v[228:231], a[142:143], v[162:163], v[228:231]// 00000000BFE8: D3F300E4 0F93458E
	s_waitcnt vmcnt(32)                                        // 00000000BFF0: BF8C8F70
	v_mfma_f32_16x16x32_fp8_fp8 v[200:203], a[144:145], v[144:145], v[200:203]// 00000000BFF4: D3F300C8 0F232190
	buffer_load_dwordx4 a[64:67], v46, s[12:15], 0 offen       // 00000000BFFC: E05C1000 8083402E
	v_mfma_f32_16x16x32_fp8_fp8 v[200:203], a[146:147], v[146:147], v[200:203]// 00000000C004: D3F300C8 0F232592
	v_mfma_f32_16x16x32_fp8_fp8 v[204:207], a[144:145], v[164:165], v[204:207]// 00000000C00C: D3F300CC 0F334990
	buffer_load_dword v12, v5, s[16:19], 0 offen               // 00000000C014: E0501000 80040C05
	v_mfma_f32_16x16x32_fp8_fp8 v[204:207], a[146:147], v[166:167], v[204:207]// 00000000C01C: D3F300CC 0F334D92
	v_mfma_f32_16x16x32_fp8_fp8 v[208:211], a[148:149], v[144:145], v[208:211]// 00000000C024: D3F300D0 0F432194
	buffer_load_dwordx4 a[68:71], v47, s[12:15], 0 offen       // 00000000C02C: E05C1000 8083442F
	v_mfma_f32_16x16x32_fp8_fp8 v[208:211], a[150:151], v[146:147], v[208:211]// 00000000C034: D3F300D0 0F432596
	v_mfma_f32_16x16x32_fp8_fp8 v[212:215], a[148:149], v[164:165], v[212:215]// 00000000C03C: D3F300D4 0F534994
	v_mfma_f32_16x16x32_fp8_fp8 v[212:215], a[150:151], v[166:167], v[212:215]// 00000000C044: D3F300D4 0F534D96
	v_mfma_f32_16x16x32_fp8_fp8 v[216:219], a[152:153], v[144:145], v[216:219]// 00000000C04C: D3F300D8 0F632198
	buffer_load_dwordx4 a[72:75], v48, s[12:15], 0 offen       // 00000000C054: E05C1000 80834830
	v_mfma_f32_16x16x32_fp8_fp8 v[216:219], a[154:155], v[146:147], v[216:219]// 00000000C05C: D3F300D8 0F63259A
	v_mfma_f32_16x16x32_fp8_fp8 v[220:223], a[152:153], v[164:165], v[220:223]// 00000000C064: D3F300DC 0F734998
	v_mfma_f32_16x16x32_fp8_fp8 v[220:223], a[154:155], v[166:167], v[220:223]// 00000000C06C: D3F300DC 0F734D9A
	v_mfma_f32_16x16x32_fp8_fp8 v[224:227], a[156:157], v[144:145], v[224:227]// 00000000C074: D3F300E0 0F83219C
	buffer_load_dwordx4 a[76:79], v49, s[12:15], 0 offen       // 00000000C07C: E05C1000 80834C31
	v_mfma_f32_16x16x32_fp8_fp8 v[224:227], a[158:159], v[146:147], v[224:227]// 00000000C084: D3F300E0 0F83259E
	v_mfma_f32_16x16x32_fp8_fp8 v[228:231], a[156:157], v[164:165], v[228:231]// 00000000C08C: D3F300E4 0F93499C
	v_mfma_f32_16x16x32_fp8_fp8 v[228:231], a[158:159], v[166:167], v[228:231]// 00000000C094: D3F300E4 0F934D9E
	s_add_u32 s60, 0x200, s80                                  // 00000000C09C: 803C50FF 00000200
	s_cmp_lt_u32 s60, s81                                      // 00000000C0A4: BF0A513C
	s_cselect_b32 s56, s56, 0                                  // 00000000C0A8: 85388038
	s_cselect_b32 s78, s78, 0                                  // 00000000C0AC: 854E804E
	s_cselect_b32 s79, s79, 0                                  // 00000000C0B0: 854F804F
	s_add_u32 s12, s56, s12                                    // 00000000C0B4: 800C0C38
	s_addc_u32 s13, 0, s13                                     // 00000000C0B8: 820D0D80
	s_add_u32 s16, s79, s16                                    // 00000000C0BC: 8010104F
	s_addc_u32 s17, 0, s17                                     // 00000000C0C0: 82111180
	v_mov_b32_e32 v42, v24                                     // 00000000C0C4: 7E540318
	v_mov_b32_e32 v44, v20                                     // 00000000C0C8: 7E580314
	v_mov_b32_e32 v43, v42                                     // 00000000C0CC: 7E56032A
	v_mov_b32_e32 v45, v44                                     // 00000000C0D0: 7E5A032C
	v_pk_mul_f32 v[200:201], v[42:43], v[200:201]              // 00000000C0D4: D3B140C8 1803912A
	v_pk_mul_f32 v[202:203], v[42:43], v[202:203]              // 00000000C0DC: D3B140CA 1803952A
	v_mul_f32_dpp v200, v13, v200 row_newbcast:0 row_mask:0xf bank_mask:0xf// 00000000C0E4: 0B9190FA FF01500D
	v_mul_f32_dpp v201, v13, v201 row_newbcast:1 row_mask:0xf bank_mask:0xf// 00000000C0EC: 0B9392FA FF01510D
	v_mul_f32_dpp v202, v13, v202 row_newbcast:2 row_mask:0xf bank_mask:0xf// 00000000C0F4: 0B9594FA FF01520D
	v_mul_f32_dpp v203, v13, v203 row_newbcast:3 row_mask:0xf bank_mask:0xf// 00000000C0FC: 0B9796FA FF01530D
	v_pk_mul_f32 v[200:201], v[44:45], v[200:201]              // 00000000C104: D3B140C8 1803912C
	v_pk_mul_f32 v[202:203], v[44:45], v[202:203]              // 00000000C10C: D3B140CA 1803952C
	v_pk_mul_f32 v[208:209], v[42:43], v[208:209]              // 00000000C114: D3B140D0 1803A12A
	v_pk_mul_f32 v[210:211], v[42:43], v[210:211]              // 00000000C11C: D3B140D2 1803A52A
	v_mul_f32_dpp v208, v13, v208 row_newbcast:4 row_mask:0xf bank_mask:0xf// 00000000C124: 0BA1A0FA FF01540D
	v_mul_f32_dpp v209, v13, v209 row_newbcast:5 row_mask:0xf bank_mask:0xf// 00000000C12C: 0BA3A2FA FF01550D
	v_mul_f32_dpp v210, v13, v210 row_newbcast:6 row_mask:0xf bank_mask:0xf// 00000000C134: 0BA5A4FA FF01560D
	v_mul_f32_dpp v211, v13, v211 row_newbcast:7 row_mask:0xf bank_mask:0xf// 00000000C13C: 0BA7A6FA FF01570D
	v_pk_mul_f32 v[208:209], v[44:45], v[208:209]              // 00000000C144: D3B140D0 1803A12C
	v_pk_mul_f32 v[210:211], v[44:45], v[210:211]              // 00000000C14C: D3B140D2 1803A52C
	v_pk_mul_f32 v[216:217], v[42:43], v[216:217]              // 00000000C154: D3B140D8 1803B12A
	v_pk_mul_f32 v[218:219], v[42:43], v[218:219]              // 00000000C15C: D3B140DA 1803B52A
	v_mul_f32_dpp v216, v13, v216 row_newbcast:8 row_mask:0xf bank_mask:0xf// 00000000C164: 0BB1B0FA FF01580D
	v_mul_f32_dpp v217, v13, v217 row_newbcast:9 row_mask:0xf bank_mask:0xf// 00000000C16C: 0BB3B2FA FF01590D
	v_mul_f32_dpp v218, v13, v218 row_newbcast:10 row_mask:0xf bank_mask:0xf// 00000000C174: 0BB5B4FA FF015A0D
	v_mul_f32_dpp v219, v13, v219 row_newbcast:11 row_mask:0xf bank_mask:0xf// 00000000C17C: 0BB7B6FA FF015B0D
	v_pk_mul_f32 v[216:217], v[44:45], v[216:217]              // 00000000C184: D3B140D8 1803B12C
	v_pk_mul_f32 v[218:219], v[44:45], v[218:219]              // 00000000C18C: D3B140DA 1803B52C
	v_pk_mul_f32 v[224:225], v[42:43], v[224:225]              // 00000000C194: D3B140E0 1803C12A
	v_pk_mul_f32 v[226:227], v[42:43], v[226:227]              // 00000000C19C: D3B140E2 1803C52A
	v_mul_f32_dpp v224, v13, v224 row_newbcast:12 row_mask:0xf bank_mask:0xf// 00000000C1A4: 0BC1C0FA FF015C0D
	v_mul_f32_dpp v225, v13, v225 row_newbcast:13 row_mask:0xf bank_mask:0xf// 00000000C1AC: 0BC3C2FA FF015D0D
	v_mul_f32_dpp v226, v13, v226 row_newbcast:14 row_mask:0xf bank_mask:0xf// 00000000C1B4: 0BC5C4FA FF015E0D
	v_mul_f32_dpp v227, v13, v227 row_newbcast:15 row_mask:0xf bank_mask:0xf// 00000000C1BC: 0BC7C6FA FF015F0D
	v_pk_mul_f32 v[224:225], v[44:45], v[224:225]              // 00000000C1C4: D3B140E0 1803C12C
	v_pk_mul_f32 v[226:227], v[44:45], v[226:227]              // 00000000C1CC: D3B140E2 1803C52C
	v_mov_b32_e32 v42, v25                                     // 00000000C1D4: 7E540319
	v_mov_b32_e32 v44, v21                                     // 00000000C1D8: 7E580315
	v_mov_b32_e32 v43, v42                                     // 00000000C1DC: 7E56032A
	v_mov_b32_e32 v45, v44                                     // 00000000C1E0: 7E5A032C
	v_pk_mul_f32 v[204:205], v[42:43], v[204:205]              // 00000000C1E4: D3B140CC 1803992A
	v_pk_mul_f32 v[206:207], v[42:43], v[206:207]              // 00000000C1EC: D3B140CE 18039D2A
	v_mul_f32_dpp v204, v13, v204 row_newbcast:0 row_mask:0xf bank_mask:0xf// 00000000C1F4: 0B9998FA FF01500D
	v_mul_f32_dpp v205, v13, v205 row_newbcast:1 row_mask:0xf bank_mask:0xf// 00000000C1FC: 0B9B9AFA FF01510D
	v_mul_f32_dpp v206, v13, v206 row_newbcast:2 row_mask:0xf bank_mask:0xf// 00000000C204: 0B9D9CFA FF01520D
	v_mul_f32_dpp v207, v13, v207 row_newbcast:3 row_mask:0xf bank_mask:0xf// 00000000C20C: 0B9F9EFA FF01530D
	v_pk_mul_f32 v[204:205], v[44:45], v[204:205]              // 00000000C214: D3B140CC 1803992C
	v_pk_mul_f32 v[206:207], v[44:45], v[206:207]              // 00000000C21C: D3B140CE 18039D2C
	v_pk_mul_f32 v[212:213], v[42:43], v[212:213]              // 00000000C224: D3B140D4 1803A92A
	v_pk_mul_f32 v[214:215], v[42:43], v[214:215]              // 00000000C22C: D3B140D6 1803AD2A
	v_mul_f32_dpp v212, v13, v212 row_newbcast:4 row_mask:0xf bank_mask:0xf// 00000000C234: 0BA9A8FA FF01540D
	v_mul_f32_dpp v213, v13, v213 row_newbcast:5 row_mask:0xf bank_mask:0xf// 00000000C23C: 0BABAAFA FF01550D
	v_mul_f32_dpp v214, v13, v214 row_newbcast:6 row_mask:0xf bank_mask:0xf// 00000000C244: 0BADACFA FF01560D
	v_mul_f32_dpp v215, v13, v215 row_newbcast:7 row_mask:0xf bank_mask:0xf// 00000000C24C: 0BAFAEFA FF01570D
	v_pk_mul_f32 v[212:213], v[44:45], v[212:213]              // 00000000C254: D3B140D4 1803A92C
	v_pk_mul_f32 v[214:215], v[44:45], v[214:215]              // 00000000C25C: D3B140D6 1803AD2C
	v_pk_mul_f32 v[220:221], v[42:43], v[220:221]              // 00000000C264: D3B140DC 1803B92A
	v_pk_mul_f32 v[222:223], v[42:43], v[222:223]              // 00000000C26C: D3B140DE 1803BD2A
	v_mul_f32_dpp v220, v13, v220 row_newbcast:8 row_mask:0xf bank_mask:0xf// 00000000C274: 0BB9B8FA FF01580D
	v_mul_f32_dpp v221, v13, v221 row_newbcast:9 row_mask:0xf bank_mask:0xf// 00000000C27C: 0BBBBAFA FF01590D
	v_mul_f32_dpp v222, v13, v222 row_newbcast:10 row_mask:0xf bank_mask:0xf// 00000000C284: 0BBDBCFA FF015A0D
	v_mul_f32_dpp v223, v13, v223 row_newbcast:11 row_mask:0xf bank_mask:0xf// 00000000C28C: 0BBFBEFA FF015B0D
	v_pk_mul_f32 v[220:221], v[44:45], v[220:221]              // 00000000C294: D3B140DC 1803B92C
	v_pk_mul_f32 v[222:223], v[44:45], v[222:223]              // 00000000C29C: D3B140DE 1803BD2C
	v_pk_mul_f32 v[228:229], v[42:43], v[228:229]              // 00000000C2A4: D3B140E4 1803C92A
	v_pk_mul_f32 v[230:231], v[42:43], v[230:231]              // 00000000C2AC: D3B140E6 1803CD2A
	v_mul_f32_dpp v228, v13, v228 row_newbcast:12 row_mask:0xf bank_mask:0xf// 00000000C2B4: 0BC9C8FA FF015C0D
	v_mul_f32_dpp v229, v13, v229 row_newbcast:13 row_mask:0xf bank_mask:0xf// 00000000C2BC: 0BCBCAFA FF015D0D
	v_mul_f32_dpp v230, v13, v230 row_newbcast:14 row_mask:0xf bank_mask:0xf// 00000000C2C4: 0BCDCCFA FF015E0D
	v_mul_f32_dpp v231, v13, v231 row_newbcast:15 row_mask:0xf bank_mask:0xf// 00000000C2CC: 0BCFCEFA FF015F0D
	v_pk_mul_f32 v[228:229], v[44:45], v[228:229]              // 00000000C2D4: D3B140E4 1803C92C
	v_pk_mul_f32 v[230:231], v[44:45], v[230:231]              // 00000000C2DC: D3B140E6 1803CD2C
	v_cmp_u_f32_e64 s[48:49], v200, v200                       // 00000000C2E4: D0480030 000391C8
	v_add3_u32 v50, v200, v53, 1                               // 00000000C2EC: D1FF0032 02066BC8
	v_cndmask_b32_e64 v42, v50, v52, s[48:49]                  // 00000000C2F4: D100002A 00C26932
	v_cmp_u_f32_e64 s[48:49], v201, v201                       // 00000000C2FC: D0480030 000393C9
	v_add3_u32 v50, v201, v53, 1                               // 00000000C304: D1FF0032 02066BC9
	v_cndmask_b32_e64 v43, v50, v52, s[48:49]                  // 00000000C30C: D100002B 00C26932
	v_perm_b32 v200, v43, v42, s52                             // 00000000C314: D1ED00C8 00D2552B
	v_cmp_u_f32_e64 s[48:49], v202, v202                       // 00000000C31C: D0480030 000395CA
	v_add3_u32 v50, v202, v53, 1                               // 00000000C324: D1FF0032 02066BCA
	v_cndmask_b32_e64 v42, v50, v52, s[48:49]                  // 00000000C32C: D100002A 00C26932
	v_cmp_u_f32_e64 s[48:49], v203, v203                       // 00000000C334: D0480030 000397CB
	v_add3_u32 v50, v203, v53, 1                               // 00000000C33C: D1FF0032 02066BCB
	v_cndmask_b32_e64 v43, v50, v52, s[48:49]                  // 00000000C344: D100002B 00C26932
	v_perm_b32 v201, v43, v42, s52                             // 00000000C34C: D1ED00C9 00D2552B
	v_cmp_u_f32_e64 s[48:49], v204, v204                       // 00000000C354: D0480030 000399CC
	v_add3_u32 v50, v204, v53, 1                               // 00000000C35C: D1FF0032 02066BCC
	v_cndmask_b32_e64 v42, v50, v52, s[48:49]                  // 00000000C364: D100002A 00C26932
	v_cmp_u_f32_e64 s[48:49], v205, v205                       // 00000000C36C: D0480030 00039BCD
	v_add3_u32 v50, v205, v53, 1                               // 00000000C374: D1FF0032 02066BCD
	v_cndmask_b32_e64 v43, v50, v52, s[48:49]                  // 00000000C37C: D100002B 00C26932
	v_perm_b32 v202, v43, v42, s52                             // 00000000C384: D1ED00CA 00D2552B
	v_cmp_u_f32_e64 s[48:49], v206, v206                       // 00000000C38C: D0480030 00039DCE
	v_add3_u32 v50, v206, v53, 1                               // 00000000C394: D1FF0032 02066BCE
	v_cndmask_b32_e64 v42, v50, v52, s[48:49]                  // 00000000C39C: D100002A 00C26932
	v_cmp_u_f32_e64 s[48:49], v207, v207                       // 00000000C3A4: D0480030 00039FCF
	v_add3_u32 v50, v207, v53, 1                               // 00000000C3AC: D1FF0032 02066BCF
	v_cndmask_b32_e64 v43, v50, v52, s[48:49]                  // 00000000C3B4: D100002B 00C26932
	v_perm_b32 v203, v43, v42, s52                             // 00000000C3BC: D1ED00CB 00D2552B
	v_cmp_u_f32_e64 s[48:49], v208, v208                       // 00000000C3C4: D0480030 0003A1D0
	v_add3_u32 v50, v208, v53, 1                               // 00000000C3CC: D1FF0032 02066BD0
	v_cndmask_b32_e64 v42, v50, v52, s[48:49]                  // 00000000C3D4: D100002A 00C26932
	v_cmp_u_f32_e64 s[48:49], v209, v209                       // 00000000C3DC: D0480030 0003A3D1
	v_add3_u32 v50, v209, v53, 1                               // 00000000C3E4: D1FF0032 02066BD1
	v_cndmask_b32_e64 v43, v50, v52, s[48:49]                  // 00000000C3EC: D100002B 00C26932
	v_perm_b32 v204, v43, v42, s52                             // 00000000C3F4: D1ED00CC 00D2552B
	v_cmp_u_f32_e64 s[48:49], v210, v210                       // 00000000C3FC: D0480030 0003A5D2
	v_add3_u32 v50, v210, v53, 1                               // 00000000C404: D1FF0032 02066BD2
	v_cndmask_b32_e64 v42, v50, v52, s[48:49]                  // 00000000C40C: D100002A 00C26932
	v_cmp_u_f32_e64 s[48:49], v211, v211                       // 00000000C414: D0480030 0003A7D3
	v_add3_u32 v50, v211, v53, 1                               // 00000000C41C: D1FF0032 02066BD3
	v_cndmask_b32_e64 v43, v50, v52, s[48:49]                  // 00000000C424: D100002B 00C26932
	v_perm_b32 v205, v43, v42, s52                             // 00000000C42C: D1ED00CD 00D2552B
	v_cmp_u_f32_e64 s[48:49], v212, v212                       // 00000000C434: D0480030 0003A9D4
	v_add3_u32 v50, v212, v53, 1                               // 00000000C43C: D1FF0032 02066BD4
	v_cndmask_b32_e64 v42, v50, v52, s[48:49]                  // 00000000C444: D100002A 00C26932
	v_cmp_u_f32_e64 s[48:49], v213, v213                       // 00000000C44C: D0480030 0003ABD5
	v_add3_u32 v50, v213, v53, 1                               // 00000000C454: D1FF0032 02066BD5
	v_cndmask_b32_e64 v43, v50, v52, s[48:49]                  // 00000000C45C: D100002B 00C26932
	v_perm_b32 v206, v43, v42, s52                             // 00000000C464: D1ED00CE 00D2552B
	v_cmp_u_f32_e64 s[48:49], v214, v214                       // 00000000C46C: D0480030 0003ADD6
	v_add3_u32 v50, v214, v53, 1                               // 00000000C474: D1FF0032 02066BD6
	v_cndmask_b32_e64 v42, v50, v52, s[48:49]                  // 00000000C47C: D100002A 00C26932
	v_cmp_u_f32_e64 s[48:49], v215, v215                       // 00000000C484: D0480030 0003AFD7
	v_add3_u32 v50, v215, v53, 1                               // 00000000C48C: D1FF0032 02066BD7
	v_cndmask_b32_e64 v43, v50, v52, s[48:49]                  // 00000000C494: D100002B 00C26932
	v_perm_b32 v207, v43, v42, s52                             // 00000000C49C: D1ED00CF 00D2552B
	v_cmp_u_f32_e64 s[48:49], v216, v216                       // 00000000C4A4: D0480030 0003B1D8
	v_add3_u32 v50, v216, v53, 1                               // 00000000C4AC: D1FF0032 02066BD8
	v_cndmask_b32_e64 v42, v50, v52, s[48:49]                  // 00000000C4B4: D100002A 00C26932
	v_cmp_u_f32_e64 s[48:49], v217, v217                       // 00000000C4BC: D0480030 0003B3D9
	v_add3_u32 v50, v217, v53, 1                               // 00000000C4C4: D1FF0032 02066BD9
	v_cndmask_b32_e64 v43, v50, v52, s[48:49]                  // 00000000C4CC: D100002B 00C26932
	v_perm_b32 v208, v43, v42, s52                             // 00000000C4D4: D1ED00D0 00D2552B
	v_cmp_u_f32_e64 s[48:49], v218, v218                       // 00000000C4DC: D0480030 0003B5DA
	v_add3_u32 v50, v218, v53, 1                               // 00000000C4E4: D1FF0032 02066BDA
	v_cndmask_b32_e64 v42, v50, v52, s[48:49]                  // 00000000C4EC: D100002A 00C26932
	v_cmp_u_f32_e64 s[48:49], v219, v219                       // 00000000C4F4: D0480030 0003B7DB
	v_add3_u32 v50, v219, v53, 1                               // 00000000C4FC: D1FF0032 02066BDB
	v_cndmask_b32_e64 v43, v50, v52, s[48:49]                  // 00000000C504: D100002B 00C26932
	v_perm_b32 v209, v43, v42, s52                             // 00000000C50C: D1ED00D1 00D2552B
	v_cmp_u_f32_e64 s[48:49], v220, v220                       // 00000000C514: D0480030 0003B9DC
	v_add3_u32 v50, v220, v53, 1                               // 00000000C51C: D1FF0032 02066BDC
	v_cndmask_b32_e64 v42, v50, v52, s[48:49]                  // 00000000C524: D100002A 00C26932
	v_cmp_u_f32_e64 s[48:49], v221, v221                       // 00000000C52C: D0480030 0003BBDD
	v_add3_u32 v50, v221, v53, 1                               // 00000000C534: D1FF0032 02066BDD
	v_cndmask_b32_e64 v43, v50, v52, s[48:49]                  // 00000000C53C: D100002B 00C26932
	v_perm_b32 v210, v43, v42, s52                             // 00000000C544: D1ED00D2 00D2552B
	v_cmp_u_f32_e64 s[48:49], v222, v222                       // 00000000C54C: D0480030 0003BDDE
	v_add3_u32 v50, v222, v53, 1                               // 00000000C554: D1FF0032 02066BDE
	v_cndmask_b32_e64 v42, v50, v52, s[48:49]                  // 00000000C55C: D100002A 00C26932
	v_cmp_u_f32_e64 s[48:49], v223, v223                       // 00000000C564: D0480030 0003BFDF
	v_add3_u32 v50, v223, v53, 1                               // 00000000C56C: D1FF0032 02066BDF
	v_cndmask_b32_e64 v43, v50, v52, s[48:49]                  // 00000000C574: D100002B 00C26932
	v_perm_b32 v211, v43, v42, s52                             // 00000000C57C: D1ED00D3 00D2552B
	v_cmp_u_f32_e64 s[48:49], v224, v224                       // 00000000C584: D0480030 0003C1E0
	v_add3_u32 v50, v224, v53, 1                               // 00000000C58C: D1FF0032 02066BE0
	v_cndmask_b32_e64 v42, v50, v52, s[48:49]                  // 00000000C594: D100002A 00C26932
	v_cmp_u_f32_e64 s[48:49], v225, v225                       // 00000000C59C: D0480030 0003C3E1
	v_add3_u32 v50, v225, v53, 1                               // 00000000C5A4: D1FF0032 02066BE1
	v_cndmask_b32_e64 v43, v50, v52, s[48:49]                  // 00000000C5AC: D100002B 00C26932
	v_perm_b32 v212, v43, v42, s52                             // 00000000C5B4: D1ED00D4 00D2552B
	v_cmp_u_f32_e64 s[48:49], v226, v226                       // 00000000C5BC: D0480030 0003C5E2
	v_add3_u32 v50, v226, v53, 1                               // 00000000C5C4: D1FF0032 02066BE2
	v_cndmask_b32_e64 v42, v50, v52, s[48:49]                  // 00000000C5CC: D100002A 00C26932
	v_cmp_u_f32_e64 s[48:49], v227, v227                       // 00000000C5D4: D0480030 0003C7E3
	v_add3_u32 v50, v227, v53, 1                               // 00000000C5DC: D1FF0032 02066BE3
	v_cndmask_b32_e64 v43, v50, v52, s[48:49]                  // 00000000C5E4: D100002B 00C26932
	v_perm_b32 v213, v43, v42, s52                             // 00000000C5EC: D1ED00D5 00D2552B
	v_cmp_u_f32_e64 s[48:49], v228, v228                       // 00000000C5F4: D0480030 0003C9E4
	v_add3_u32 v50, v228, v53, 1                               // 00000000C5FC: D1FF0032 02066BE4
	v_cndmask_b32_e64 v42, v50, v52, s[48:49]                  // 00000000C604: D100002A 00C26932
	v_cmp_u_f32_e64 s[48:49], v229, v229                       // 00000000C60C: D0480030 0003CBE5
	v_add3_u32 v50, v229, v53, 1                               // 00000000C614: D1FF0032 02066BE5
	v_cndmask_b32_e64 v43, v50, v52, s[48:49]                  // 00000000C61C: D100002B 00C26932
	v_perm_b32 v214, v43, v42, s52                             // 00000000C624: D1ED00D6 00D2552B
	v_cmp_u_f32_e64 s[48:49], v230, v230                       // 00000000C62C: D0480030 0003CDE6
	v_add3_u32 v50, v230, v53, 1                               // 00000000C634: D1FF0032 02066BE6
	v_cndmask_b32_e64 v42, v50, v52, s[48:49]                  // 00000000C63C: D100002A 00C26932
	v_cmp_u_f32_e64 s[48:49], v231, v231                       // 00000000C644: D0480030 0003CFE7
	v_add3_u32 v50, v231, v53, 1                               // 00000000C64C: D1FF0032 02066BE7
	v_cndmask_b32_e64 v43, v50, v52, s[48:49]                  // 00000000C654: D100002B 00C26932
	v_perm_b32 v215, v43, v42, s52                             // 00000000C65C: D1ED00D7 00D2552B
	ds_write_b64 v3, v[200:201] offset:2048                    // 00000000C664: D89A0800 0000C803
	ds_write_b64 v3, v[202:203] offset:10752                   // 00000000C66C: D89A2A00 0000CA03
	ds_write_b64 v3, v[204:205] offset:4224                    // 00000000C674: D89A1080 0000CC03
	ds_write_b64 v3, v[206:207] offset:12928                   // 00000000C67C: D89A3280 0000CE03
	ds_write_b64 v3, v[208:209] offset:6400                    // 00000000C684: D89A1900 0000D003
	ds_write_b64 v3, v[210:211] offset:15104                   // 00000000C68C: D89A3B00 0000D203
	ds_write_b64 v3, v[212:213] offset:8576                    // 00000000C694: D89A2180 0000D403
	ds_write_b64 v3, v[214:215] offset:17280                   // 00000000C69C: D89A4380 0000D603
	s_waitcnt lgkmcnt(0)                                       // 00000000C6A4: BF8CC07F
	s_barrier                                                  // 00000000C6A8: BF8A0000
	ds_read_b32 v64, v4 offset:2048                            // 00000000C6AC: D86C0800 40000004
	ds_read_b32 v65, v4 offset:6400                            // 00000000C6B4: D86C1900 41000004
	ds_read_b32 v66, v4 offset:2080                            // 00000000C6BC: D86C0820 42000004
	ds_read_b32 v67, v4 offset:6432                            // 00000000C6C4: D86C1920 43000004
	ds_read_b32 v68, v4 offset:2112                            // 00000000C6CC: D86C0840 44000004
	ds_read_b32 v69, v4 offset:6464                            // 00000000C6D4: D86C1940 45000004
	ds_read_b32 v70, v4 offset:2144                            // 00000000C6DC: D86C0860 46000004
	ds_read_b32 v71, v4 offset:6496                            // 00000000C6E4: D86C1960 47000004
	ds_read_b32 v72, v4 offset:10752                           // 00000000C6EC: D86C2A00 48000004
	ds_read_b32 v73, v4 offset:15104                           // 00000000C6F4: D86C3B00 49000004
	ds_read_b32 v74, v4 offset:10784                           // 00000000C6FC: D86C2A20 4A000004
	ds_read_b32 v75, v4 offset:15136                           // 00000000C704: D86C3B20 4B000004
	ds_read_b32 v76, v4 offset:10816                           // 00000000C70C: D86C2A40 4C000004
	ds_read_b32 v77, v4 offset:15168                           // 00000000C714: D86C3B40 4D000004
	ds_read_b32 v78, v4 offset:10848                           // 00000000C71C: D86C2A60 4E000004
	ds_read_b32 v79, v4 offset:15200                           // 00000000C724: D86C3B60 4F000004
	s_waitcnt lgkmcnt(0)                                       // 00000000C72C: BF8CC07F
	s_mov_b64 exec, s[20:21]                                   // 00000000C730: BEFE0114
	global_atomic_pk_add_bf16 v80, v64, s[8:9]                 // 00000000C734: DD488000 00084050
	s_mov_b64 exec, s[36:37]                                   // 00000000C73C: BEFE0124
	s_mov_b64 exec, s[20:21]                                   // 00000000C740: BEFE0114
	global_atomic_pk_add_bf16 v80, v65, s[8:9] offset:256      // 00000000C744: DD488100 00084150
	s_mov_b64 exec, s[36:37]                                   // 00000000C74C: BEFE0124
	s_mov_b64 exec, s[22:23]                                   // 00000000C750: BEFE0116
	global_atomic_pk_add_bf16 v82, v66, s[8:9]                 // 00000000C754: DD488000 00084252
	s_mov_b64 exec, s[36:37]                                   // 00000000C75C: BEFE0124
	s_mov_b64 exec, s[22:23]                                   // 00000000C760: BEFE0116
	global_atomic_pk_add_bf16 v82, v67, s[8:9] offset:256      // 00000000C764: DD488100 00084352
	s_mov_b64 exec, s[36:37]                                   // 00000000C76C: BEFE0124
	s_mov_b64 exec, s[24:25]                                   // 00000000C770: BEFE0118
	global_atomic_pk_add_bf16 v84, v68, s[8:9]                 // 00000000C774: DD488000 00084454
	s_mov_b64 exec, s[36:37]                                   // 00000000C77C: BEFE0124
	s_mov_b64 exec, s[24:25]                                   // 00000000C780: BEFE0118
	global_atomic_pk_add_bf16 v84, v69, s[8:9] offset:256      // 00000000C784: DD488100 00084554
	s_mov_b64 exec, s[36:37]                                   // 00000000C78C: BEFE0124
	s_mov_b64 exec, s[26:27]                                   // 00000000C790: BEFE011A
	global_atomic_pk_add_bf16 v86, v70, s[8:9]                 // 00000000C794: DD488000 00084656
	s_mov_b64 exec, s[36:37]                                   // 00000000C79C: BEFE0124
	s_mov_b64 exec, s[26:27]                                   // 00000000C7A0: BEFE011A
	global_atomic_pk_add_bf16 v86, v71, s[8:9] offset:256      // 00000000C7A4: DD488100 00084756
	s_mov_b64 exec, s[36:37]                                   // 00000000C7AC: BEFE0124
	s_mov_b64 exec, s[28:29]                                   // 00000000C7B0: BEFE011C
	global_atomic_pk_add_bf16 v88, v72, s[8:9]                 // 00000000C7B4: DD488000 00084858
	s_mov_b64 exec, s[36:37]                                   // 00000000C7BC: BEFE0124
	s_mov_b64 exec, s[28:29]                                   // 00000000C7C0: BEFE011C
	global_atomic_pk_add_bf16 v88, v73, s[8:9] offset:256      // 00000000C7C4: DD488100 00084958
	s_mov_b64 exec, s[36:37]                                   // 00000000C7CC: BEFE0124
	s_mov_b64 exec, s[30:31]                                   // 00000000C7D0: BEFE011E
	global_atomic_pk_add_bf16 v90, v74, s[8:9]                 // 00000000C7D4: DD488000 00084A5A
	s_mov_b64 exec, s[36:37]                                   // 00000000C7DC: BEFE0124
	s_mov_b64 exec, s[30:31]                                   // 00000000C7E0: BEFE011E
	global_atomic_pk_add_bf16 v90, v75, s[8:9] offset:256      // 00000000C7E4: DD488100 00084B5A
	s_mov_b64 exec, s[36:37]                                   // 00000000C7EC: BEFE0124
	s_mov_b64 exec, s[32:33]                                   // 00000000C7F0: BEFE0120
	global_atomic_pk_add_bf16 v92, v76, s[8:9]                 // 00000000C7F4: DD488000 00084C5C
	s_mov_b64 exec, s[36:37]                                   // 00000000C7FC: BEFE0124
	s_mov_b64 exec, s[32:33]                                   // 00000000C800: BEFE0120
	global_atomic_pk_add_bf16 v92, v77, s[8:9] offset:256      // 00000000C804: DD488100 00084D5C
	s_mov_b64 exec, s[36:37]                                   // 00000000C80C: BEFE0124
	s_mov_b64 exec, s[34:35]                                   // 00000000C810: BEFE0122
	global_atomic_pk_add_bf16 v94, v78, s[8:9]                 // 00000000C814: DD488000 00084E5E
	s_mov_b64 exec, s[36:37]                                   // 00000000C81C: BEFE0124
	s_mov_b64 exec, s[34:35]                                   // 00000000C820: BEFE0122
	global_atomic_pk_add_bf16 v94, v79, s[8:9] offset:256      // 00000000C824: DD488100 00084F5E
	s_mov_b64 exec, s[36:37]                                   // 00000000C82C: BEFE0124
	s_add_u32 s8, s59, s8                                      // 00000000C830: 8008083B
	s_addc_u32 s9, 0, s9                                       // 00000000C834: 82090980
	s_addk_i32 s80, 0x100                                      // 00000000C838: B7500100
	s_cmp_lt_i32 s80, s81                                      // 00000000C83C: BF045150
	s_cbranch_scc0 label_152A                                  // 00000000C840: BF84EE99
	s_branch label_210D                                        // 00000000C844: BF82FA7B

000000000000c848 <label_2692>:
	s_waitcnt vmcnt(0) expcnt(0) lgkmcnt(0)                    // 00000000C848: BF8C0000
	s_endpgm                                                   // 00000000C84C: BF810000
